;; amdgpu-corpus repo=ROCm/rocFFT kind=compiled arch=gfx906 opt=O3
	.text
	.amdgcn_target "amdgcn-amd-amdhsa--gfx906"
	.amdhsa_code_object_version 6
	.protected	fft_rtc_fwd_len546_factors_13_3_7_2_wgs_117_tpt_39_halfLds_half_ip_CI_unitstride_sbrr_dirReg ; -- Begin function fft_rtc_fwd_len546_factors_13_3_7_2_wgs_117_tpt_39_halfLds_half_ip_CI_unitstride_sbrr_dirReg
	.globl	fft_rtc_fwd_len546_factors_13_3_7_2_wgs_117_tpt_39_halfLds_half_ip_CI_unitstride_sbrr_dirReg
	.p2align	8
	.type	fft_rtc_fwd_len546_factors_13_3_7_2_wgs_117_tpt_39_halfLds_half_ip_CI_unitstride_sbrr_dirReg,@function
fft_rtc_fwd_len546_factors_13_3_7_2_wgs_117_tpt_39_halfLds_half_ip_CI_unitstride_sbrr_dirReg: ; @fft_rtc_fwd_len546_factors_13_3_7_2_wgs_117_tpt_39_halfLds_half_ip_CI_unitstride_sbrr_dirReg
; %bb.0:
	s_load_dwordx2 s[12:13], s[4:5], 0x50
	s_load_dwordx4 s[8:11], s[4:5], 0x0
	s_load_dwordx2 s[2:3], s[4:5], 0x18
	v_mul_u32_u24_e32 v1, 0x691, v0
	v_lshrrev_b32_e32 v1, 16, v1
	v_mad_u64_u32 v[1:2], s[0:1], s6, 3, v[1:2]
	v_mov_b32_e32 v5, 0
	s_waitcnt lgkmcnt(0)
	v_cmp_lt_u64_e64 s[0:1], s[10:11], 2
	v_mov_b32_e32 v2, v5
	v_mov_b32_e32 v3, 0
	;; [unrolled: 1-line block ×3, first 2 shown]
	s_and_b64 vcc, exec, s[0:1]
	v_mov_b32_e32 v4, 0
	v_mov_b32_e32 v9, v1
	s_cbranch_vccnz .LBB0_8
; %bb.1:
	s_load_dwordx2 s[0:1], s[4:5], 0x10
	s_add_u32 s6, s2, 8
	s_addc_u32 s7, s3, 0
	v_mov_b32_e32 v3, 0
	v_mov_b32_e32 v8, v2
	s_waitcnt lgkmcnt(0)
	s_add_u32 s16, s0, 8
	s_mov_b64 s[14:15], 1
	v_mov_b32_e32 v4, 0
	s_addc_u32 s17, s1, 0
	v_mov_b32_e32 v7, v1
.LBB0_2:                                ; =>This Inner Loop Header: Depth=1
	s_load_dwordx2 s[18:19], s[16:17], 0x0
                                        ; implicit-def: $vgpr9_vgpr10
	s_waitcnt lgkmcnt(0)
	v_or_b32_e32 v6, s19, v8
	v_cmp_ne_u64_e32 vcc, 0, v[5:6]
	s_and_saveexec_b64 s[0:1], vcc
	s_xor_b64 s[20:21], exec, s[0:1]
	s_cbranch_execz .LBB0_4
; %bb.3:                                ;   in Loop: Header=BB0_2 Depth=1
	v_cvt_f32_u32_e32 v2, s18
	v_cvt_f32_u32_e32 v6, s19
	s_sub_u32 s0, 0, s18
	s_subb_u32 s1, 0, s19
	v_mac_f32_e32 v2, 0x4f800000, v6
	v_rcp_f32_e32 v2, v2
	v_mul_f32_e32 v2, 0x5f7ffffc, v2
	v_mul_f32_e32 v6, 0x2f800000, v2
	v_trunc_f32_e32 v6, v6
	v_mac_f32_e32 v2, 0xcf800000, v6
	v_cvt_u32_f32_e32 v6, v6
	v_cvt_u32_f32_e32 v2, v2
	v_mul_lo_u32 v9, s0, v6
	v_mul_hi_u32 v10, s0, v2
	v_mul_lo_u32 v12, s1, v2
	v_mul_lo_u32 v11, s0, v2
	v_add_u32_e32 v9, v10, v9
	v_add_u32_e32 v9, v9, v12
	v_mul_hi_u32 v10, v2, v11
	v_mul_lo_u32 v12, v2, v9
	v_mul_hi_u32 v14, v2, v9
	v_mul_hi_u32 v13, v6, v11
	v_mul_lo_u32 v11, v6, v11
	v_mul_hi_u32 v15, v6, v9
	v_add_co_u32_e32 v10, vcc, v10, v12
	v_addc_co_u32_e32 v12, vcc, 0, v14, vcc
	v_mul_lo_u32 v9, v6, v9
	v_add_co_u32_e32 v10, vcc, v10, v11
	v_addc_co_u32_e32 v10, vcc, v12, v13, vcc
	v_addc_co_u32_e32 v11, vcc, 0, v15, vcc
	v_add_co_u32_e32 v9, vcc, v10, v9
	v_addc_co_u32_e32 v10, vcc, 0, v11, vcc
	v_add_co_u32_e32 v2, vcc, v2, v9
	v_addc_co_u32_e32 v6, vcc, v6, v10, vcc
	v_mul_lo_u32 v9, s0, v6
	v_mul_hi_u32 v10, s0, v2
	v_mul_lo_u32 v11, s1, v2
	v_mul_lo_u32 v12, s0, v2
	v_add_u32_e32 v9, v10, v9
	v_add_u32_e32 v9, v9, v11
	v_mul_lo_u32 v13, v2, v9
	v_mul_hi_u32 v14, v2, v12
	v_mul_hi_u32 v15, v2, v9
	;; [unrolled: 1-line block ×3, first 2 shown]
	v_mul_lo_u32 v12, v6, v12
	v_mul_hi_u32 v10, v6, v9
	v_add_co_u32_e32 v13, vcc, v14, v13
	v_addc_co_u32_e32 v14, vcc, 0, v15, vcc
	v_mul_lo_u32 v9, v6, v9
	v_add_co_u32_e32 v12, vcc, v13, v12
	v_addc_co_u32_e32 v11, vcc, v14, v11, vcc
	v_addc_co_u32_e32 v10, vcc, 0, v10, vcc
	v_add_co_u32_e32 v9, vcc, v11, v9
	v_addc_co_u32_e32 v10, vcc, 0, v10, vcc
	v_add_co_u32_e32 v2, vcc, v2, v9
	v_addc_co_u32_e32 v6, vcc, v6, v10, vcc
	v_mad_u64_u32 v[9:10], s[0:1], v7, v6, 0
	v_mul_hi_u32 v11, v7, v2
	v_add_co_u32_e32 v13, vcc, v11, v9
	v_addc_co_u32_e32 v14, vcc, 0, v10, vcc
	v_mad_u64_u32 v[9:10], s[0:1], v8, v2, 0
	v_mad_u64_u32 v[11:12], s[0:1], v8, v6, 0
	v_add_co_u32_e32 v2, vcc, v13, v9
	v_addc_co_u32_e32 v2, vcc, v14, v10, vcc
	v_addc_co_u32_e32 v6, vcc, 0, v12, vcc
	v_add_co_u32_e32 v2, vcc, v2, v11
	v_addc_co_u32_e32 v6, vcc, 0, v6, vcc
	v_mul_lo_u32 v11, s19, v2
	v_mul_lo_u32 v12, s18, v6
	v_mad_u64_u32 v[9:10], s[0:1], s18, v2, 0
	v_add3_u32 v10, v10, v12, v11
	v_sub_u32_e32 v11, v8, v10
	v_mov_b32_e32 v12, s19
	v_sub_co_u32_e32 v9, vcc, v7, v9
	v_subb_co_u32_e64 v11, s[0:1], v11, v12, vcc
	v_subrev_co_u32_e64 v12, s[0:1], s18, v9
	v_subbrev_co_u32_e64 v11, s[0:1], 0, v11, s[0:1]
	v_cmp_le_u32_e64 s[0:1], s19, v11
	v_cndmask_b32_e64 v13, 0, -1, s[0:1]
	v_cmp_le_u32_e64 s[0:1], s18, v12
	v_cndmask_b32_e64 v12, 0, -1, s[0:1]
	v_cmp_eq_u32_e64 s[0:1], s19, v11
	v_cndmask_b32_e64 v11, v13, v12, s[0:1]
	v_add_co_u32_e64 v12, s[0:1], 2, v2
	v_addc_co_u32_e64 v13, s[0:1], 0, v6, s[0:1]
	v_add_co_u32_e64 v14, s[0:1], 1, v2
	v_addc_co_u32_e64 v15, s[0:1], 0, v6, s[0:1]
	v_subb_co_u32_e32 v10, vcc, v8, v10, vcc
	v_cmp_ne_u32_e64 s[0:1], 0, v11
	v_cmp_le_u32_e32 vcc, s19, v10
	v_cndmask_b32_e64 v11, v15, v13, s[0:1]
	v_cndmask_b32_e64 v13, 0, -1, vcc
	v_cmp_le_u32_e32 vcc, s18, v9
	v_cndmask_b32_e64 v9, 0, -1, vcc
	v_cmp_eq_u32_e32 vcc, s19, v10
	v_cndmask_b32_e32 v9, v13, v9, vcc
	v_cmp_ne_u32_e32 vcc, 0, v9
	v_cndmask_b32_e32 v10, v6, v11, vcc
	v_cndmask_b32_e64 v6, v14, v12, s[0:1]
	v_cndmask_b32_e32 v9, v2, v6, vcc
.LBB0_4:                                ;   in Loop: Header=BB0_2 Depth=1
	s_andn2_saveexec_b64 s[0:1], s[20:21]
	s_cbranch_execz .LBB0_6
; %bb.5:                                ;   in Loop: Header=BB0_2 Depth=1
	v_cvt_f32_u32_e32 v2, s18
	s_sub_i32 s20, 0, s18
	v_rcp_iflag_f32_e32 v2, v2
	v_mul_f32_e32 v2, 0x4f7ffffe, v2
	v_cvt_u32_f32_e32 v2, v2
	v_mul_lo_u32 v6, s20, v2
	v_mul_hi_u32 v6, v2, v6
	v_add_u32_e32 v2, v2, v6
	v_mul_hi_u32 v2, v7, v2
	v_mul_lo_u32 v6, v2, s18
	v_add_u32_e32 v9, 1, v2
	v_sub_u32_e32 v6, v7, v6
	v_subrev_u32_e32 v10, s18, v6
	v_cmp_le_u32_e32 vcc, s18, v6
	v_cndmask_b32_e32 v6, v6, v10, vcc
	v_cndmask_b32_e32 v2, v2, v9, vcc
	v_add_u32_e32 v9, 1, v2
	v_cmp_le_u32_e32 vcc, s18, v6
	v_cndmask_b32_e32 v9, v2, v9, vcc
	v_mov_b32_e32 v10, v5
.LBB0_6:                                ;   in Loop: Header=BB0_2 Depth=1
	s_or_b64 exec, exec, s[0:1]
	v_mul_lo_u32 v2, v10, s18
	v_mul_lo_u32 v6, v9, s19
	v_mad_u64_u32 v[11:12], s[0:1], v9, s18, 0
	s_load_dwordx2 s[0:1], s[6:7], 0x0
	s_add_u32 s14, s14, 1
	v_add3_u32 v2, v12, v6, v2
	v_sub_co_u32_e32 v6, vcc, v7, v11
	v_subb_co_u32_e32 v2, vcc, v8, v2, vcc
	s_waitcnt lgkmcnt(0)
	v_mul_lo_u32 v2, s0, v2
	v_mul_lo_u32 v7, s1, v6
	v_mad_u64_u32 v[3:4], s[0:1], s0, v6, v[3:4]
	s_addc_u32 s15, s15, 0
	s_add_u32 s6, s6, 8
	v_add3_u32 v4, v7, v4, v2
	v_mov_b32_e32 v6, s10
	v_mov_b32_e32 v7, s11
	s_addc_u32 s7, s7, 0
	v_cmp_ge_u64_e32 vcc, s[14:15], v[6:7]
	s_add_u32 s16, s16, 8
	s_addc_u32 s17, s17, 0
	s_cbranch_vccnz .LBB0_8
; %bb.7:                                ;   in Loop: Header=BB0_2 Depth=1
	v_mov_b32_e32 v7, v9
	v_mov_b32_e32 v8, v10
	s_branch .LBB0_2
.LBB0_8:
	s_lshl_b64 s[0:1], s[10:11], 3
	s_add_u32 s0, s2, s0
	s_addc_u32 s1, s3, s1
	s_load_dwordx2 s[2:3], s[0:1], 0x0
	s_load_dwordx2 s[6:7], s[4:5], 0x20
                                        ; implicit-def: $vgpr8
                                        ; implicit-def: $vgpr34
                                        ; implicit-def: $vgpr48
                                        ; implicit-def: $vgpr35
                                        ; implicit-def: $vgpr49
                                        ; implicit-def: $vgpr36
                                        ; implicit-def: $vgpr50
                                        ; implicit-def: $vgpr37
                                        ; implicit-def: $vgpr51
                                        ; implicit-def: $vgpr38
                                        ; implicit-def: $vgpr53
                                        ; implicit-def: $vgpr39
                                        ; implicit-def: $vgpr54
                                        ; implicit-def: $vgpr40
                                        ; implicit-def: $vgpr55
                                        ; implicit-def: $vgpr41
                                        ; implicit-def: $vgpr56
                                        ; implicit-def: $vgpr42
                                        ; implicit-def: $vgpr57
                                        ; implicit-def: $vgpr43
                                        ; implicit-def: $vgpr58
                                        ; implicit-def: $vgpr44
                                        ; implicit-def: $vgpr59
                                        ; implicit-def: $vgpr45
                                        ; implicit-def: $vgpr29
                                        ; implicit-def: $vgpr27
                                        ; implicit-def: $vgpr11
                                        ; implicit-def: $vgpr26
                                        ; implicit-def: $vgpr12
                                        ; implicit-def: $vgpr25
                                        ; implicit-def: $vgpr13
                                        ; implicit-def: $vgpr22
                                        ; implicit-def: $vgpr14
                                        ; implicit-def: $vgpr21
                                        ; implicit-def: $vgpr15
                                        ; implicit-def: $vgpr33
                                        ; implicit-def: $vgpr23
                                        ; implicit-def: $vgpr32
                                        ; implicit-def: $vgpr20
                                        ; implicit-def: $vgpr31
                                        ; implicit-def: $vgpr19
                                        ; implicit-def: $vgpr30
                                        ; implicit-def: $vgpr18
                                        ; implicit-def: $vgpr28
                                        ; implicit-def: $vgpr17
                                        ; implicit-def: $vgpr24
                                        ; implicit-def: $vgpr16
	s_waitcnt lgkmcnt(0)
	v_mad_u64_u32 v[2:3], s[0:1], s2, v9, v[3:4]
	v_mul_lo_u32 v5, s2, v10
	v_mul_lo_u32 v6, s3, v9
	s_mov_b32 s0, 0x6906907
	v_mul_hi_u32 v4, v0, s0
	v_cmp_gt_u64_e32 vcc, s[6:7], v[9:10]
	v_add3_u32 v3, v6, v3, v5
	v_lshlrev_b64 v[6:7], 2, v[2:3]
	v_mul_u32_u24_e32 v4, 39, v4
	v_sub_u32_e32 v4, v0, v4
	v_mov_b32_e32 v10, 0
	v_mov_b32_e32 v5, 0
                                        ; implicit-def: $vgpr2
                                        ; implicit-def: $vgpr3
                                        ; implicit-def: $vgpr0
	s_and_saveexec_b64 s[2:3], vcc
	s_cbranch_execz .LBB0_12
; %bb.9:
	v_mov_b32_e32 v5, 0
	v_mov_b32_e32 v0, s13
	v_add_co_u32_e64 v8, s[0:1], s12, v6
	v_lshlrev_b64 v[2:3], 2, v[4:5]
	v_addc_co_u32_e64 v0, s[0:1], v0, v7, s[0:1]
	v_add_co_u32_e64 v2, s[0:1], v8, v2
	v_addc_co_u32_e64 v3, s[0:1], v0, v3, s[0:1]
	global_load_dword v8, v[2:3], off
	global_load_dword v34, v[2:3], off offset:168
	global_load_dword v35, v[2:3], off offset:336
	;; [unrolled: 1-line block ×12, first 2 shown]
	v_cmp_gt_u32_e64 s[0:1], 3, v4
	v_mov_b32_e32 v10, v5
                                        ; implicit-def: $vgpr16
                                        ; implicit-def: $vgpr24
                                        ; implicit-def: $vgpr17
                                        ; implicit-def: $vgpr28
                                        ; implicit-def: $vgpr18
                                        ; implicit-def: $vgpr30
                                        ; implicit-def: $vgpr19
                                        ; implicit-def: $vgpr31
                                        ; implicit-def: $vgpr20
                                        ; implicit-def: $vgpr32
                                        ; implicit-def: $vgpr23
                                        ; implicit-def: $vgpr33
                                        ; implicit-def: $vgpr15
                                        ; implicit-def: $vgpr21
                                        ; implicit-def: $vgpr14
                                        ; implicit-def: $vgpr22
                                        ; implicit-def: $vgpr13
                                        ; implicit-def: $vgpr25
                                        ; implicit-def: $vgpr12
                                        ; implicit-def: $vgpr26
                                        ; implicit-def: $vgpr11
                                        ; implicit-def: $vgpr27
                                        ; implicit-def: $vgpr0
                                        ; implicit-def: $vgpr29
	s_and_saveexec_b64 s[4:5], s[0:1]
	s_cbranch_execz .LBB0_11
; %bb.10:
	global_load_dword v5, v[2:3], off offset:156
	global_load_dword v0, v[2:3], off offset:324
	;; [unrolled: 1-line block ×13, first 2 shown]
	s_waitcnt vmcnt(12)
	v_lshrrev_b32_e32 v10, 16, v5
	s_waitcnt vmcnt(11)
	v_lshrrev_b32_e32 v29, 16, v0
	;; [unrolled: 2-line block ×13, first 2 shown]
.LBB0_11:
	s_or_b64 exec, exec, s[4:5]
	s_waitcnt vmcnt(12)
	v_lshrrev_b32_e32 v2, 16, v8
	s_waitcnt vmcnt(11)
	v_lshrrev_b32_e32 v3, 16, v34
	;; [unrolled: 2-line block ×13, first 2 shown]
.LBB0_12:
	s_or_b64 exec, exec, s[2:3]
	s_mov_b32 s0, 0xaaaaaaab
	v_mul_hi_u32 v9, v1, s0
	v_add_f16_e32 v46, v34, v45
	s_mov_b32 s5, 0x388b3b15
	v_sub_f16_e32 v47, v3, v59
	v_lshrrev_b32_e32 v9, 1, v9
	v_add_f16_e32 v52, v35, v44
	v_lshl_add_u32 v9, v9, 1, v9
	v_pk_mul_f16 v65, v46, s5 op_sel_hi:[0,1]
	s_mov_b32 s0, 0xba95b770
	s_mov_b32 s4, 0xb5ac388b
	v_sub_u32_e32 v1, v1, v9
	v_sub_f16_e32 v64, v48, v58
	v_pk_fma_f16 v9, v47, s0, v65 op_sel_hi:[0,1,1] neg_lo:[1,0,0] neg_hi:[1,0,0]
	v_pk_mul_f16 v66, v52, s4 op_sel_hi:[0,1]
	s_mov_b32 s1, 0xbb7bba95
	v_add_f16_e32 v62, v36, v43
	s_mov_b32 s6, 0xbbc42fb7
	v_pk_add_f16 v9, v9, v8 op_sel_hi:[1,0]
	v_pk_fma_f16 v60, v64, s1, v66 op_sel_hi:[0,1,1] neg_lo:[1,0,0] neg_hi:[1,0,0]
	s_mov_b32 s2, 0xb3a8bbf1
	v_sub_f16_e32 v67, v49, v57
	v_pk_mul_f16 v68, v62, s6 op_sel_hi:[0,1]
	s_mov_b32 s7, 0xb9fdb5ac
	v_add_f16_e32 v63, v37, v42
	v_pk_add_f16 v9, v60, v9
	v_pk_fma_f16 v60, v67, s2, v68 op_sel_hi:[0,1,1] neg_lo:[1,0,0] neg_hi:[1,0,0]
	s_mov_b32 s3, 0x394ebb7b
	v_sub_f16_e32 v69, v50, v56
	v_pk_mul_f16 v70, v63, s7 op_sel_hi:[0,1]
	s_mov_b32 s10, 0x2fb7b9fd
	v_add_f16_e32 v71, v38, v41
	v_pk_add_f16 v9, v60, v9
	v_pk_fma_f16 v60, v69, s3, v70 op_sel_hi:[0,1,1] neg_lo:[1,0,0] neg_hi:[1,0,0]
	s_mov_b32 s20, 0x3bf1b94e
	v_sub_f16_e32 v72, v51, v55
	v_pk_mul_f16 v73, v71, s10 op_sel_hi:[0,1]
	s_mov_b32 s11, 0xb5ac2fb7
	v_pk_add_f16 v9, v60, v9
	v_pk_fma_f16 v60, v72, s20, v73 op_sel_hi:[0,1,1] neg_lo:[1,0,0] neg_hi:[1,0,0]
	s_mov_b32 s21, 0xbb7bbbf1
	v_pk_mul_f16 v74, v46, s11 op_sel_hi:[0,1]
	s_mov_b32 s11, 0xb9fdbbc4
	v_pk_add_f16 v9, v60, v9
	v_pk_fma_f16 v60, v47, s21, v74 op_sel_hi:[0,1,1] neg_lo:[1,0,0] neg_hi:[1,0,0]
	s_mov_b32 s22, 0x394eb3a8
	v_pk_mul_f16 v75, v52, s11 op_sel_hi:[0,1]
	s_mov_b32 s11, 0x3b15b5ac
	v_pk_add_f16 v60, v60, v8 op_sel_hi:[1,0]
	v_pk_fma_f16 v61, v64, s22, v75 op_sel_hi:[0,1,1] neg_lo:[1,0,0] neg_hi:[1,0,0]
	s_mov_b32 s23, 0x37703b7b
	v_pk_mul_f16 v76, v62, s11 op_sel_hi:[0,1]
	s_mov_b32 s11, 0x2fb73b15
	v_pk_add_f16 v60, v61, v60
	v_pk_fma_f16 v61, v67, s23, v76 op_sel_hi:[0,1,1] neg_lo:[1,0,0] neg_hi:[1,0,0]
	s_mov_b32 s24, 0xbbf13770
	v_pk_mul_f16 v77, v63, s11 op_sel_hi:[0,1]
	s_mov_b32 s11, 0xbbc4388b
	v_pk_add_f16 v60, v61, v60
	v_pk_fma_f16 v61, v69, s24, v77 op_sel_hi:[0,1,1] neg_lo:[1,0,0] neg_hi:[1,0,0]
	s_mov_b32 s25, 0x33a8ba95
	v_pk_mul_f16 v78, v71, s11 op_sel_hi:[0,1]
	s_mov_b32 s18, 0x3b15bbc4
	v_add_f16_e32 v79, v39, v40
	v_pk_add_f16 v60, v61, v60
	v_pk_fma_f16 v61, v72, s25, v78 op_sel_hi:[0,1,1] neg_lo:[1,0,0] neg_hi:[1,0,0]
	s_mov_b32 s26, 0x3770b3a8
	v_sub_f16_e32 v80, v53, v54
	v_pk_mul_f16 v81, v79, s18 op_sel_hi:[0,1]
	v_pk_add_f16 v61, v61, v60
	s_mov_b32 s11, 0x388bb9fd
	v_pk_fma_f16 v60, v80, s26, v81 op_sel_hi:[0,1,1] neg_lo:[1,0,0] neg_hi:[1,0,0]
	s_mov_b32 s15, 0xbbc4b9fd
	s_mov_b32 s27, 0x3a95b94e
	v_pk_mul_f16 v82, v79, s11 op_sel_hi:[0,1]
	v_pk_add_f16 v60, v60, v9
	v_pk_mul_f16 v9, v46, s15 op_sel_hi:[0,1]
	s_mov_b32 s28, 0xb3a8b94e
	s_mov_b32 s14, 0x3b152fb7
	v_pk_fma_f16 v83, v80, s27, v82 op_sel_hi:[0,1,1] neg_lo:[1,0,0] neg_hi:[1,0,0]
	v_pk_fma_f16 v46, v47, s28, v9 op_sel_hi:[0,1,1] neg_lo:[1,0,0] neg_hi:[1,0,0]
	v_pk_mul_f16 v52, v52, s14 op_sel_hi:[0,1]
	s_mov_b32 s29, 0x37703bf1
	v_pk_add_f16 v61, v83, v61
	v_pk_add_f16 v46, v46, v8 op_sel_hi:[1,0]
	v_pk_fma_f16 v83, v64, s29, v52 op_sel_hi:[0,1,1] neg_lo:[1,0,0] neg_hi:[1,0,0]
	s_mov_b32 s11, 0xb9fd388b
	v_pk_add_f16 v46, v83, v46
	v_pk_mul_f16 v83, v62, s11 op_sel_hi:[0,1]
	s_mov_b32 s30, 0xb94eba95
	s_mov_b32 s16, 0x388bbbc4
	v_pk_fma_f16 v62, v67, s30, v83 op_sel_hi:[0,1,1] neg_lo:[1,0,0] neg_hi:[1,0,0]
	v_pk_mul_f16 v63, v63, s16 op_sel_hi:[0,1]
	s_mov_b32 s31, 0x3a9533a8
	s_mov_b32 s17, 0xb5ac3b15
	v_pk_add_f16 v46, v62, v46
	v_pk_fma_f16 v62, v69, s31, v63 op_sel_hi:[0,1,1] neg_lo:[1,0,0] neg_hi:[1,0,0]
	v_pk_mul_f16 v71, v71, s17 op_sel_hi:[0,1]
	s_mov_b32 s33, 0xbb7b3770
	s_mov_b32 s19, 0x2fb7b5ac
	v_pk_add_f16 v46, v62, v46
	v_pk_fma_f16 v62, v72, s33, v71 op_sel_hi:[0,1,1] neg_lo:[1,0,0] neg_hi:[1,0,0]
	v_pk_mul_f16 v79, v79, s19 op_sel_hi:[0,1]
	s_mov_b32 s34, 0x3bf1bb7b
	v_pk_add_f16 v46, v62, v46
	v_pk_fma_f16 v62, v80, s34, v79 op_sel_hi:[0,1,1] neg_lo:[1,0,0] neg_hi:[1,0,0]
	v_pk_fma_f16 v9, v47, s28, v9 op_sel_hi:[0,1,1]
	v_pk_add_f16 v62, v62, v46
	v_pk_add_f16 v9, v9, v8 op_sel_hi:[1,0]
	v_pk_fma_f16 v46, v64, s29, v52 op_sel_hi:[0,1,1]
	v_pk_add_f16 v9, v46, v9
	v_pk_fma_f16 v46, v67, s30, v83 op_sel_hi:[0,1,1]
	v_pk_add_f16 v9, v46, v9
	;; [unrolled: 2-line block ×5, first 2 shown]
	v_pk_fma_f16 v46, v47, s21, v74 op_sel_hi:[0,1,1]
	v_pk_add_f16 v46, v46, v8 op_sel_hi:[1,0]
	v_pk_fma_f16 v52, v64, s22, v75 op_sel_hi:[0,1,1]
	v_pk_add_f16 v46, v52, v46
	v_pk_fma_f16 v52, v67, s23, v76 op_sel_hi:[0,1,1]
	v_pk_add_f16 v46, v52, v46
	;; [unrolled: 2-line block ×5, first 2 shown]
	v_pk_fma_f16 v46, v47, s0, v65 op_sel_hi:[0,1,1]
	v_pk_add_f16 v46, v46, v8 op_sel_hi:[1,0]
	v_add_f16_e32 v8, v8, v34
	v_add_f16_e32 v8, v8, v35
	;; [unrolled: 1-line block ×10, first 2 shown]
	v_alignbit_b32 v63, v9, v9, 16
	v_mul_u32_u24_e32 v9, 0x222, v1
	v_mad_u32_u24 v1, v4, 26, 0
	v_pk_fma_f16 v47, v64, s1, v66 op_sel_hi:[0,1,1]
	v_add_f16_e32 v8, v8, v44
	v_lshl_add_u32 v1, v9, 1, v1
	v_pk_add_f16 v46, v47, v46
	v_pk_fma_f16 v47, v67, s2, v68 op_sel_hi:[0,1,1]
	v_add_f16_e32 v8, v8, v45
	v_pk_add_f16 v46, v47, v46
	v_pk_fma_f16 v47, v69, s3, v70 op_sel_hi:[0,1,1]
	ds_write_b16 v1, v8
	v_add_f16_e32 v8, v5, v0
	v_pk_add_f16 v46, v47, v46
	v_pk_fma_f16 v47, v72, s20, v73 op_sel_hi:[0,1,1]
	v_sub_f16_e32 v67, v29, v33
	v_add_f16_e32 v8, v8, v11
	ds_write_b128 v1, v[60:63] offset:2
	v_add_f16_e32 v66, v0, v23
	s_movk_i32 s20, 0x3b15
	v_pk_add_f16 v46, v47, v46
	v_mul_f16_e32 v60, 0xb770, v67
	v_pk_fma_f16 v47, v80, s26, v81 op_sel_hi:[0,1,1]
	v_add_f16_e32 v8, v8, v12
	v_fma_f16 v61, v66, s20, -v60
	v_pk_add_f16 v46, v47, v46
	v_add_f16_e32 v8, v8, v13
	v_add_f16_e32 v63, v5, v61
	v_alignbit_b32 v61, v52, v52, 16
	v_alignbit_b32 v62, v46, v46, 16
	v_sub_f16_e32 v69, v27, v32
	v_add_f16_e32 v8, v8, v14
	ds_write_b64 v1, v[61:62] offset:18
	v_add_f16_e32 v68, v11, v20
	s_movk_i32 s21, 0x388b
	v_mul_f16_e32 v61, 0xba95, v69
	v_sub_f16_e32 v71, v26, v31
	v_add_f16_e32 v8, v8, v15
	v_fma_f16 v47, v68, s21, -v61
	s_movk_i32 s22, 0x2fb7
	v_add_f16_e32 v70, v12, v19
	v_mul_f16_e32 v62, 0xbbf1, v71
	v_sub_f16_e32 v73, v25, v30
	v_add_f16_e32 v8, v8, v16
	v_add_f16_e32 v47, v63, v47
	v_fma_f16 v52, v70, s22, -v62
	s_mov_b32 s23, 0xb5ac
	v_add_f16_e32 v72, v13, v18
	v_mul_f16_e32 v63, 0xbb7b, v73
	v_sub_f16_e32 v75, v22, v28
	v_add_f16_e32 v8, v17, v8
	v_add_f16_e32 v47, v47, v52
	v_fma_f16 v52, v72, s23, -v63
	s_mov_b32 s24, 0xb9fd
	;; [unrolled: 7-line block ×3, first 2 shown]
	v_add_f16_e32 v76, v15, v16
	v_mul_f16_e32 v65, 0xb3a8, v77
	v_add_f16_e32 v8, v19, v8
	v_add_f16_e32 v47, v47, v52
	v_fma_f16 v52, v76, s25, -v65
	v_add_f16_e32 v8, v20, v8
	v_add_f16_e32 v47, v47, v52
	;; [unrolled: 1-line block ×3, first 2 shown]
	v_cmp_gt_u32_e64 s[2:3], 3, v4
	s_and_saveexec_b64 s[0:1], s[2:3]
	s_cbranch_execz .LBB0_14
; %bb.13:
	v_mul_f16_e32 v89, 0x3770, v69
	v_mul_f16_e32 v87, 0xb3a8, v67
	v_fma_f16 v79, v68, s20, -v89
	s_mov_b32 s20, 0xb94ebb7b
	v_fma_f16 v78, v66, s25, -v87
	v_pk_mul_f16 v100, v67, s20 op_sel_hi:[0,1]
	s_mov_b32 s20, 0x3bf1394e
	v_mul_f16_e32 v91, 0xb94e, v71
	v_add_f16_e32 v78, v5, v78
	v_pk_mul_f16 v102, v69, s20 op_sel_hi:[0,1]
	s_mov_b32 s20, 0xba953770
	v_mul_f16_e32 v93, 0x3a95, v73
	v_add_f16_e32 v78, v78, v79
	v_fma_f16 v79, v70, s24, -v91
	v_pk_mul_f16 v104, v71, s20 op_sel_hi:[0,1]
	s_mov_b32 s20, 0x33a8bbf1
	v_mul_f16_e32 v95, 0xbb7b, v75
	v_add_f16_e32 v78, v78, v79
	v_fma_f16 v79, v72, s21, -v93
	;; [unrolled: 5-line block ×3, first 2 shown]
	v_pk_mul_f16 v108, v75, s20 op_sel_hi:[0,1]
	s_mov_b32 s20, 0xbb7b3a95
	s_mov_b32 s21, 0xbbf1ba95
	v_add_f16_e32 v78, v78, v79
	v_fma_f16 v79, v76, s22, -v97
	v_pk_mul_f16 v110, v77, s20 op_sel_hi:[0,1]
	s_mov_b32 s20, 0x2fb7388b
	v_pk_mul_f16 v112, v67, s21 op_sel_hi:[0,1]
	s_mov_b32 s22, 0xb3a8bb7b
	v_add_f16_e32 v98, v78, v79
	s_mov_b32 s21, 0xbbc4b5ac
	v_pk_mul_f16 v114, v69, s22 op_sel_hi:[0,1]
	s_mov_b32 s23, 0x3b7bb3a8
	v_pk_fma_f16 v78, v66, s20, v112 op_sel_hi:[0,1,1] neg_lo:[0,0,1] neg_hi:[0,0,1]
	s_mov_b32 s22, 0xb5acbbc4
	v_pk_mul_f16 v116, v71, s23 op_sel_hi:[0,1]
	s_mov_b32 s24, 0x3770394e
	v_pk_add_f16 v78, v5, v78 op_sel_hi:[0,1]
	v_pk_fma_f16 v79, v68, s21, v114 op_sel_hi:[0,1,1] neg_lo:[0,0,1] neg_hi:[0,0,1]
	s_mov_b32 s23, 0x3b15b9fd
	v_pk_mul_f16 v118, v73, s24 op_sel_hi:[0,1]
	s_mov_b32 s25, 0xba953bf1
	v_pk_add_f16 v78, v78, v79
	v_pk_fma_f16 v79, v70, s22, v116 op_sel_hi:[0,1,1] neg_lo:[0,0,1] neg_hi:[0,0,1]
	s_mov_b32 s24, 0x388b2fb7
	v_pk_mul_f16 v120, v75, s25 op_sel_hi:[0,1]
	s_mov_b32 s26, 0xb94e3770
	v_pk_add_f16 v78, v78, v79
	v_pk_fma_f16 v79, v72, s23, v118 op_sel_hi:[0,1,1] neg_lo:[0,0,1] neg_hi:[0,0,1]
	s_mov_b32 s25, 0xb9fd3b15
	v_pk_mul_f16 v122, v77, s26 op_sel_hi:[0,1]
	v_pk_add_f16 v78, v78, v79
	v_pk_fma_f16 v79, v74, s24, v120 op_sel_hi:[0,1,1] neg_lo:[0,0,1] neg_hi:[0,0,1]
	v_pk_add_f16 v78, v78, v79
	v_pk_fma_f16 v79, v76, s25, v122 op_sel_hi:[0,1,1] neg_lo:[0,0,1] neg_hi:[0,0,1]
	;; [unrolled: 2-line block ×3, first 2 shown]
	v_pk_add_f16 v78, v5, v78 op_sel_hi:[0,1]
	v_pk_fma_f16 v80, v68, s10, v102 op_sel_hi:[0,1,1] neg_lo:[0,0,1] neg_hi:[0,0,1]
	v_pk_add_f16 v78, v78, v80
	v_pk_fma_f16 v80, v70, s5, v104 op_sel_hi:[0,1,1] neg_lo:[0,0,1] neg_hi:[0,0,1]
	v_pk_add_f16 v78, v78, v80
	;; [unrolled: 2-line block ×3, first 2 shown]
	v_pk_fma_f16 v80, v74, s18, v108 op_sel_hi:[0,1,1] neg_lo:[0,0,1] neg_hi:[0,0,1]
	v_pk_mul_f16 v109, v76, s4 op_sel_hi:[0,1]
	v_pk_add_f16 v78, v78, v80
	v_pk_fma_f16 v80, v76, s4, v110 op_sel_hi:[0,1,1] neg_lo:[0,0,1] neg_hi:[0,0,1]
	s_mov_b32 s4, 0x5040100
	v_mul_f16_e32 v86, 0xbbc4, v66
	v_pk_mul_f16 v99, v66, s7 op_sel_hi:[0,1]
	v_pk_mul_f16 v103, v70, s5 op_sel_hi:[0,1]
	v_pk_add_f16 v80, v78, v80
	v_perm_b32 v78, v47, v52, s4
	s_mov_b32 s5, 0xffff
	v_mul_f16_e32 v88, 0x3b15, v68
	v_pk_mul_f16 v101, v68, s10 op_sel_hi:[0,1]
	ds_write_b96 v1, v[78:80] offset:1014
	ds_write_b16 v1, v98 offset:1026
	v_bfi_b32 v78, s5, v87, v100
	v_bfi_b32 v79, s5, v86, v99
	v_pk_add_f16 v78, v78, v79
	v_bfi_b32 v79, s5, v89, v102
	v_bfi_b32 v80, s5, v88, v101
	v_mul_f16_e32 v90, 0xb9fd, v70
	v_pk_add_f16 v78, v5, v78 op_sel_hi:[0,1]
	v_pk_add_f16 v79, v79, v80
	v_pk_add_f16 v78, v78, v79
	v_bfi_b32 v79, s5, v91, v104
	v_bfi_b32 v80, s5, v90, v103
	v_mul_f16_e32 v92, 0x388b, v72
	v_pk_mul_f16 v105, v72, s6 op_sel_hi:[0,1]
	v_pk_add_f16 v79, v79, v80
	v_pk_add_f16 v78, v78, v79
	v_bfi_b32 v79, s5, v93, v106
	v_bfi_b32 v80, s5, v92, v105
	v_mul_f16_e32 v94, 0xb5ac, v74
	v_pk_mul_f16 v107, v74, s18 op_sel_hi:[0,1]
	v_pk_add_f16 v79, v79, v80
	v_pk_add_f16 v78, v78, v79
	v_bfi_b32 v79, s5, v95, v108
	v_bfi_b32 v80, s5, v94, v107
	v_mul_f16_e32 v8, 0x3b15, v66
	v_mul_f16_e32 v96, 0x2fb7, v76
	v_pk_mul_f16 v111, v66, s20 op_sel_hi:[0,1]
	v_pk_add_f16 v79, v79, v80
	v_pk_add_f16 v78, v78, v79
	v_bfi_b32 v79, s5, v97, v110
	v_bfi_b32 v80, s5, v96, v109
	s_mov_b32 s5, 0xbbf1bb7b
	v_pk_mul_f16 v66, v66, s19 op_sel_hi:[0,1]
	v_perm_b32 v60, v60, v112, s4
	v_perm_b32 v8, v8, v111, s4
	v_mul_f16_e32 v81, 0x388b, v68
	v_pk_mul_f16 v113, v68, s21 op_sel_hi:[0,1]
	v_pk_fma_f16 v66, v67, s5, v66 op_sel_hi:[0,1,1]
	v_pk_add_f16 v8, v60, v8
	v_pk_add_f16 v66, v5, v66 op_sel_hi:[0,1]
	s_mov_b32 s5, 0xb3a8394e
	v_pk_mul_f16 v67, v68, s15 op_sel_hi:[0,1]
	v_pk_add_f16 v5, v5, v8 op_sel_hi:[0,1]
	v_perm_b32 v8, v61, v114, s4
	v_perm_b32 v60, v81, v113, s4
	v_mul_f16_e32 v82, 0x2fb7, v70
	v_pk_mul_f16 v115, v70, s22 op_sel_hi:[0,1]
	v_pk_fma_f16 v67, v69, s5, v67 op_sel_hi:[0,1,1]
	v_pk_add_f16 v8, v8, v60
	v_pk_add_f16 v66, v66, v67
	s_mov_b32 s5, 0x3b7b3770
	v_pk_mul_f16 v67, v70, s17 op_sel_hi:[0,1]
	v_pk_add_f16 v5, v5, v8
	v_perm_b32 v8, v62, v116, s4
	v_perm_b32 v60, v82, v115, s4
	v_mul_f16_e32 v83, 0xb5ac, v72
	v_pk_mul_f16 v117, v72, s23 op_sel_hi:[0,1]
	v_pk_fma_f16 v67, v71, s5, v67 op_sel_hi:[0,1,1]
	v_pk_add_f16 v8, v8, v60
	v_pk_add_f16 v66, v66, v67
	s_mov_b32 s5, 0x3770bbf1
	v_pk_mul_f16 v67, v72, s14 op_sel_hi:[0,1]
	v_pk_add_f16 v5, v5, v8
	;; [unrolled: 10-line block ×4, first 2 shown]
	v_perm_b32 v8, v65, v122, s4
	v_perm_b32 v60, v85, v121, s4
	v_pk_add_f16 v79, v79, v80
	v_pk_fma_f16 v67, v77, s5, v67 op_sel_hi:[0,1,1]
	v_pk_add_f16 v8, v8, v60
	v_pk_add_f16 v78, v78, v79
	;; [unrolled: 1-line block ×4, first 2 shown]
	ds_write_b96 v1, v[78:80] offset:1028
.LBB0_14:
	s_or_b64 exec, exec, s[0:1]
	v_lshlrev_b32_e32 v5, 1, v9
	v_lshlrev_b32_e32 v9, 1, v4
	v_add3_u32 v8, 0, v5, v9
	s_waitcnt lgkmcnt(0)
	s_barrier
	v_add3_u32 v9, 0, v9, v5
	ds_read_u16 v63, v8
	ds_read_u16 v62, v9 offset:78
	ds_read_u16 v60, v9 offset:156
	;; [unrolled: 1-line block ×11, first 2 shown]
	v_cmp_gt_u32_e64 s[0:1], 26, v4
	s_and_saveexec_b64 s[4:5], s[0:1]
	s_cbranch_execz .LBB0_16
; %bb.15:
	ds_read_u16 v46, v9 offset:312
	ds_read_u16 v52, v9 offset:676
	;; [unrolled: 1-line block ×3, first 2 shown]
.LBB0_16:
	s_or_b64 exec, exec, s[4:5]
	v_sub_f16_e32 v45, v34, v45
	s_mov_b32 s4, 0xba95b770
	v_add_f16_e32 v72, v2, v3
	v_add_f16_e32 v3, v3, v59
	v_sub_f16_e32 v35, v35, v44
	s_mov_b32 s11, 0x388b3b15
	v_pk_mul_f16 v34, v45, s4 op_sel_hi:[0,1]
	s_mov_b32 s5, 0xbb7bba95
	v_add_f16_e32 v72, v72, v48
	v_add_f16_e32 v48, v48, v58
	v_sub_f16_e32 v42, v37, v42
	v_sub_f16_e32 v41, v38, v41
	v_pk_fma_f16 v37, v3, s11, v34 op_sel_hi:[0,1,1]
	s_mov_b32 s14, 0xb5ac388b
	v_pk_mul_f16 v38, v35, s5 op_sel_hi:[0,1]
	v_add_f16_e32 v72, v72, v49
	v_sub_f16_e32 v36, v36, v43
	v_sub_f16_e32 v39, v39, v40
	v_pk_add_f16 v37, v37, v2 op_sel_hi:[1,0]
	v_pk_fma_f16 v40, v48, s14, v38 op_sel_hi:[0,1,1]
	s_mov_b32 s41, 0xb3a8bbf1
	v_add_f16_e32 v72, v72, v50
	v_add_f16_e32 v44, v49, v57
	v_pk_add_f16 v37, v40, v37
	s_mov_b32 s15, 0xbbc42fb7
	v_pk_mul_f16 v40, v36, s41 op_sel_hi:[0,1]
	v_add_f16_e32 v72, v72, v51
	v_add_f16_e32 v49, v51, v55
	v_pk_fma_f16 v51, v44, s15, v40 op_sel_hi:[0,1,1]
	s_mov_b32 s42, 0x394ebb7b
	v_add_f16_e32 v43, v50, v56
	v_pk_add_f16 v37, v51, v37
	s_mov_b32 s17, 0xb9fdb5ac
	v_pk_mul_f16 v51, v42, s42 op_sel_hi:[0,1]
	v_pk_fma_f16 v34, v3, s11, v34 op_sel_hi:[0,1,1] neg_lo:[0,0,1] neg_hi:[0,0,1]
	v_add_f16_e32 v72, v72, v53
	v_add_f16_e32 v50, v53, v54
	v_pk_fma_f16 v53, v43, s17, v51 op_sel_hi:[0,1,1]
	s_mov_b32 s43, 0x3bf1b94e
	v_pk_add_f16 v34, v34, v2 op_sel_hi:[1,0]
	v_pk_fma_f16 v38, v48, s14, v38 op_sel_hi:[0,1,1] neg_lo:[0,0,1] neg_hi:[0,0,1]
	v_pk_add_f16 v37, v53, v37
	s_mov_b32 s20, 0x2fb7b9fd
	v_pk_mul_f16 v53, v41, s43 op_sel_hi:[0,1]
	v_pk_add_f16 v34, v38, v34
	v_pk_fma_f16 v38, v44, s15, v40 op_sel_hi:[0,1,1] neg_lo:[0,0,1] neg_hi:[0,0,1]
	v_add_f16_e32 v72, v72, v54
	v_pk_fma_f16 v54, v49, s20, v53 op_sel_hi:[0,1,1]
	s_mov_b32 s44, 0x3770b3a8
	v_pk_add_f16 v34, v38, v34
	v_pk_fma_f16 v38, v43, s17, v51 op_sel_hi:[0,1,1] neg_lo:[0,0,1] neg_hi:[0,0,1]
	v_pk_add_f16 v37, v54, v37
	s_mov_b32 s21, 0x3b15bbc4
	v_pk_mul_f16 v54, v39, s44 op_sel_hi:[0,1]
	v_pk_add_f16 v34, v38, v34
	v_pk_fma_f16 v38, v49, s20, v53 op_sel_hi:[0,1,1] neg_lo:[0,0,1] neg_hi:[0,0,1]
	s_mov_b32 s25, 0xbb7bbbf1
	v_pk_add_f16 v34, v38, v34
	v_pk_fma_f16 v38, v50, s21, v54 op_sel_hi:[0,1,1] neg_lo:[0,0,1] neg_hi:[0,0,1]
	s_mov_b32 s6, 0xb5ac2fb7
	v_pk_mul_f16 v40, v45, s25 op_sel_hi:[0,1]
	s_mov_b32 s26, 0x394eb3a8
	v_pk_add_f16 v34, v38, v34
	v_pk_fma_f16 v38, v3, s6, v40 op_sel_hi:[0,1,1]
	s_mov_b32 s7, 0xb9fdbbc4
	v_pk_mul_f16 v51, v35, s26 op_sel_hi:[0,1]
	v_pk_add_f16 v38, v38, v2 op_sel_hi:[1,0]
	v_pk_fma_f16 v53, v48, s7, v51 op_sel_hi:[0,1,1]
	s_mov_b32 s28, 0x37703b7b
	v_pk_add_f16 v38, v53, v38
	s_mov_b32 s10, 0x3b15b5ac
	v_pk_mul_f16 v53, v36, s28 op_sel_hi:[0,1]
	v_add_f16_e32 v72, v72, v55
	v_pk_fma_f16 v55, v50, s21, v54 op_sel_hi:[0,1,1]
	v_pk_fma_f16 v54, v44, s10, v53 op_sel_hi:[0,1,1]
	s_mov_b32 s30, 0xbbf13770
	v_pk_add_f16 v38, v54, v38
	s_mov_b32 s16, 0x2fb73b15
	v_pk_mul_f16 v54, v42, s30 op_sel_hi:[0,1]
	v_pk_fma_f16 v40, v3, s6, v40 op_sel_hi:[0,1,1] neg_lo:[0,0,1] neg_hi:[0,0,1]
	v_pk_add_f16 v37, v55, v37
	v_pk_fma_f16 v55, v43, s16, v54 op_sel_hi:[0,1,1]
	s_mov_b32 s31, 0x33a8ba95
	v_pk_add_f16 v40, v40, v2 op_sel_hi:[1,0]
	v_pk_fma_f16 v51, v48, s7, v51 op_sel_hi:[0,1,1] neg_lo:[0,0,1] neg_hi:[0,0,1]
	v_pk_add_f16 v38, v55, v38
	s_mov_b32 s18, 0xbbc4388b
	v_pk_mul_f16 v55, v41, s31 op_sel_hi:[0,1]
	v_pk_add_f16 v40, v51, v40
	v_pk_fma_f16 v51, v44, s10, v53 op_sel_hi:[0,1,1] neg_lo:[0,0,1] neg_hi:[0,0,1]
	v_add_f16_e32 v72, v72, v56
	v_pk_fma_f16 v56, v49, s18, v55 op_sel_hi:[0,1,1]
	s_mov_b32 s34, 0x3a95b94e
	v_pk_add_f16 v40, v51, v40
	v_pk_fma_f16 v51, v43, s16, v54 op_sel_hi:[0,1,1] neg_lo:[0,0,1] neg_hi:[0,0,1]
	v_pk_add_f16 v38, v56, v38
	s_mov_b32 s22, 0x388bb9fd
	v_pk_mul_f16 v56, v39, s34 op_sel_hi:[0,1]
	v_pk_add_f16 v40, v51, v40
	v_pk_fma_f16 v51, v49, s18, v55 op_sel_hi:[0,1,1] neg_lo:[0,0,1] neg_hi:[0,0,1]
	v_pk_add_f16 v40, v51, v40
	v_pk_fma_f16 v51, v50, s22, v56 op_sel_hi:[0,1,1] neg_lo:[0,0,1] neg_hi:[0,0,1]
	s_mov_b32 s35, 0xb3a8b94e
	v_pk_add_f16 v51, v51, v40
	s_mov_b32 s19, 0xbbc4b9fd
	v_pk_mul_f16 v40, v45, s35 op_sel_hi:[0,1]
	s_mov_b32 s36, 0x37703bf1
	v_pk_fma_f16 v45, v3, s19, v40 op_sel_hi:[0,1,1]
	s_mov_b32 s23, 0x3b152fb7
	v_pk_mul_f16 v35, v35, s36 op_sel_hi:[0,1]
	s_mov_b32 s37, 0xb94eba95
	v_pk_add_f16 v45, v45, v2 op_sel_hi:[1,0]
	v_pk_fma_f16 v53, v48, s23, v35 op_sel_hi:[0,1,1]
	s_mov_b32 s24, 0xb9fd388b
	v_pk_mul_f16 v36, v36, s37 op_sel_hi:[0,1]
	s_mov_b32 s38, 0x3a9533a8
	v_pk_fma_f16 v3, v3, s19, v40 op_sel_hi:[0,1,1] neg_lo:[0,0,1] neg_hi:[0,0,1]
	v_pk_add_f16 v45, v53, v45
	v_pk_fma_f16 v53, v44, s24, v36 op_sel_hi:[0,1,1]
	s_mov_b32 s27, 0x388bbbc4
	v_pk_mul_f16 v42, v42, s38 op_sel_hi:[0,1]
	s_mov_b32 s39, 0xbb7b3770
	v_pk_add_f16 v2, v3, v2 op_sel_hi:[1,0]
	v_pk_fma_f16 v3, v48, s23, v35 op_sel_hi:[0,1,1] neg_lo:[0,0,1] neg_hi:[0,0,1]
	v_pk_add_f16 v45, v53, v45
	v_pk_fma_f16 v53, v43, s27, v42 op_sel_hi:[0,1,1]
	s_mov_b32 s29, 0xb5ac3b15
	v_pk_mul_f16 v41, v41, s39 op_sel_hi:[0,1]
	v_pk_add_f16 v2, v3, v2
	v_pk_fma_f16 v3, v44, s24, v36 op_sel_hi:[0,1,1] neg_lo:[0,0,1] neg_hi:[0,0,1]
	v_pk_add_f16 v45, v53, v45
	v_pk_fma_f16 v53, v49, s29, v41 op_sel_hi:[0,1,1]
	s_mov_b32 s40, 0x3bf1bb7b
	v_pk_add_f16 v2, v3, v2
	v_pk_fma_f16 v3, v43, s27, v42 op_sel_hi:[0,1,1] neg_lo:[0,0,1] neg_hi:[0,0,1]
	v_pk_add_f16 v45, v53, v45
	s_mov_b32 s33, 0x2fb7b5ac
	v_pk_mul_f16 v53, v39, s40 op_sel_hi:[0,1]
	v_pk_add_f16 v2, v3, v2
	v_pk_fma_f16 v3, v49, s29, v41 op_sel_hi:[0,1,1] neg_lo:[0,0,1] neg_hi:[0,0,1]
	v_pk_add_f16 v2, v3, v2
	v_pk_fma_f16 v3, v50, s33, v53 op_sel_hi:[0,1,1] neg_lo:[0,0,1] neg_hi:[0,0,1]
	v_pk_add_f16 v40, v3, v2
	v_add_f16_e32 v2, v10, v29
	v_add_f16_e32 v2, v2, v27
	;; [unrolled: 1-line block ×11, first 2 shown]
	v_sub_f16_e32 v36, v0, v23
	v_add_f16_e32 v35, v33, v2
	v_add_f16_e32 v33, v29, v33
	v_sub_f16_e32 v29, v11, v20
	v_pk_mul_f16 v2, v36, s4 op_sel_hi:[0,1]
	v_add_f16_e32 v27, v27, v32
	v_add_f16_e32 v23, v26, v31
	v_sub_f16_e32 v26, v12, v19
	v_sub_f16_e32 v20, v13, v18
	v_pk_fma_f16 v0, v33, s11, v2 op_sel_hi:[0,1,1]
	v_pk_mul_f16 v13, v29, s5 op_sel_hi:[0,1]
	v_sub_f16_e32 v12, v15, v16
	v_pk_add_f16 v0, v10, v0 op_sel_hi:[0,1]
	v_pk_fma_f16 v11, v27, s14, v13 op_sel_hi:[0,1,1]
	v_pk_mul_f16 v15, v26, s41 op_sel_hi:[0,1]
	v_add_f16_e32 v19, v25, v30
	v_sub_f16_e32 v14, v14, v17
	v_pk_add_f16 v0, v0, v11
	v_pk_fma_f16 v11, v23, s15, v15 op_sel_hi:[0,1,1]
	v_pk_mul_f16 v16, v20, s42 op_sel_hi:[0,1]
	v_add_f16_e32 v18, v22, v28
	v_pk_add_f16 v0, v0, v11
	v_pk_fma_f16 v11, v19, s17, v16 op_sel_hi:[0,1,1]
	v_pk_mul_f16 v17, v14, s43 op_sel_hi:[0,1]
	v_add_f16_e32 v72, v72, v57
	v_add_f16_e32 v3, v21, v24
	v_pk_add_f16 v0, v0, v11
	v_pk_fma_f16 v11, v18, s20, v17 op_sel_hi:[0,1,1]
	v_pk_mul_f16 v21, v12, s44 op_sel_hi:[0,1]
	v_add_f16_e32 v72, v72, v58
	v_pk_fma_f16 v57, v50, s22, v56 op_sel_hi:[0,1,1]
	v_pk_fma_f16 v39, v50, s33, v53 op_sel_hi:[0,1,1]
	v_pk_add_f16 v0, v0, v11
	v_pk_fma_f16 v11, v3, s21, v21 op_sel_hi:[0,1,1]
	v_add_f16_e32 v72, v72, v59
	v_pk_add_f16 v38, v57, v38
	v_pk_add_f16 v39, v39, v45
	;; [unrolled: 1-line block ×3, first 2 shown]
	v_add_u32_e32 v11, 39, v4
	v_alignbit_b32 v40, v40, v40, 16
	v_alignbit_b32 v24, v51, v51, 16
	;; [unrolled: 1-line block ×3, first 2 shown]
	s_waitcnt lgkmcnt(0)
	s_barrier
	ds_write_b16 v1, v72
	ds_write_b128 v1, v[37:40] offset:2
	ds_write_b64 v1, v[24:25] offset:18
	s_and_saveexec_b64 s[4:5], s[2:3]
	s_cbranch_execz .LBB0_18
; %bb.17:
	v_pk_mul_f16 v1, v33, s11 op_sel_hi:[0,1]
	s_mov_b32 s2, 0x5040100
	v_perm_b32 v10, v10, v10, s2
	v_pack_b32_f16 v25, v27, v27
	v_pk_mul_f16 v27, v27, s14 op_sel_hi:[0,1]
	v_pk_add_f16 v1, v1, v2 neg_lo:[0,1] neg_hi:[0,1]
	v_pack_b32_f16 v28, v29, v29
	v_pack_b32_f16 v29, v23, v23
	v_pk_mul_f16 v23, v23, s15 op_sel_hi:[0,1]
	v_pk_add_f16 v1, v10, v1
	v_pk_add_f16 v2, v27, v13 neg_lo:[0,1] neg_hi:[0,1]
	v_pack_b32_f16 v30, v19, v19
	v_pk_mul_f16 v19, v19, s17 op_sel_hi:[0,1]
	v_pk_add_f16 v1, v1, v2
	v_pk_add_f16 v2, v23, v15 neg_lo:[0,1] neg_hi:[0,1]
	;; [unrolled: 4-line block ×4, first 2 shown]
	v_pack_b32_f16 v24, v36, v36
	v_pk_add_f16 v1, v1, v2
	v_pk_add_f16 v2, v3, v21 neg_lo:[0,1] neg_hi:[0,1]
	v_pack_b32_f16 v22, v33, v33
	v_pk_add_f16 v13, v1, v2
	v_pk_mul_f16 v2, v24, s25
	v_pk_fma_f16 v1, v22, s6, v2
	v_pk_mul_f16 v3, v28, s26
	v_pack_b32_f16 v26, v26, v26
	v_pk_add_f16 v1, v10, v1
	v_pk_fma_f16 v15, v25, s7, v3
	v_pk_add_f16 v1, v1, v15
	v_pk_mul_f16 v15, v26, s28
	v_pack_b32_f16 v20, v20, v20
	v_pk_fma_f16 v16, v29, s10, v15
	v_pk_add_f16 v1, v1, v16
	v_pk_mul_f16 v16, v20, s30
	v_pk_fma_f16 v2, v22, s6, v2 neg_lo:[0,0,1] neg_hi:[0,0,1]
	v_pack_b32_f16 v14, v14, v14
	v_pk_fma_f16 v17, v30, s16, v16
	v_pk_add_f16 v2, v10, v2
	v_pk_fma_f16 v3, v25, s7, v3 neg_lo:[0,0,1] neg_hi:[0,0,1]
	v_pk_add_f16 v1, v1, v17
	v_pk_mul_f16 v17, v14, s31
	v_pk_add_f16 v2, v2, v3
	v_pk_fma_f16 v3, v29, s10, v15 neg_lo:[0,0,1] neg_hi:[0,0,1]
	v_pack_b32_f16 v12, v12, v12
	v_pk_fma_f16 v18, v31, s18, v17
	v_pk_add_f16 v2, v2, v3
	v_pk_fma_f16 v3, v30, s16, v16 neg_lo:[0,0,1] neg_hi:[0,0,1]
	v_pk_add_f16 v1, v1, v18
	v_pk_mul_f16 v18, v12, s34
	v_pk_add_f16 v2, v2, v3
	v_pk_fma_f16 v3, v31, s18, v17 neg_lo:[0,0,1] neg_hi:[0,0,1]
	v_pk_add_f16 v2, v2, v3
	v_pk_fma_f16 v3, v32, s22, v18 neg_lo:[0,0,1] neg_hi:[0,0,1]
	v_pk_add_f16 v15, v2, v3
	v_pk_mul_f16 v3, v24, s35
	v_pk_fma_f16 v2, v22, s19, v3
	v_pk_mul_f16 v16, v28, s36
	v_pk_add_f16 v2, v10, v2
	v_pk_fma_f16 v17, v25, s23, v16
	v_pk_add_f16 v2, v2, v17
	v_pk_mul_f16 v17, v26, s37
	v_pk_fma_f16 v3, v22, s19, v3 neg_lo:[0,0,1] neg_hi:[0,0,1]
	v_pk_fma_f16 v19, v32, s22, v18
	v_pk_fma_f16 v18, v29, s24, v17
	v_pk_add_f16 v3, v10, v3
	v_pk_fma_f16 v10, v25, s23, v16 neg_lo:[0,0,1] neg_hi:[0,0,1]
	v_pk_add_f16 v2, v2, v18
	v_pk_mul_f16 v18, v20, s38
	v_pk_add_f16 v3, v3, v10
	v_pk_fma_f16 v10, v29, s24, v17 neg_lo:[0,0,1] neg_hi:[0,0,1]
	v_pk_mul_f16 v14, v14, s39
	v_pk_add_f16 v3, v3, v10
	v_pk_fma_f16 v10, v30, s27, v18 neg_lo:[0,0,1] neg_hi:[0,0,1]
	v_pk_add_f16 v1, v1, v19
	v_pk_fma_f16 v19, v30, s27, v18
	v_pk_mul_f16 v12, v12, s40
	v_pk_add_f16 v3, v3, v10
	v_pk_fma_f16 v10, v31, s29, v14 neg_lo:[0,0,1] neg_hi:[0,0,1]
	v_pk_add_f16 v2, v2, v19
	v_pk_fma_f16 v19, v31, s29, v14
	v_pk_add_f16 v3, v3, v10
	v_pk_fma_f16 v10, v32, s33, v12 neg_lo:[0,0,1] neg_hi:[0,0,1]
	v_pk_add_f16 v2, v2, v19
	v_pk_fma_f16 v19, v32, s33, v12
	v_pk_add_f16 v3, v3, v10
	v_mul_u32_u24_e32 v10, 26, v11
	v_pk_add_f16 v2, v2, v19
	v_add3_u32 v10, 0, v10, v5
	v_alignbit_b32 v3, v3, v3, 16
	ds_write_b128 v10, v[0:3] offset:2
	v_alignbit_b32 v1, v15, v15, 16
	v_alignbit_b32 v2, v13, v13, 16
	ds_write_b16 v10, v35
	ds_write_b64 v10, v[1:2] offset:18
.LBB0_18:
	s_or_b64 exec, exec, s[4:5]
	s_waitcnt lgkmcnt(0)
	s_barrier
	ds_read_u16 v10, v8
	ds_read_u16 v3, v9 offset:78
	ds_read_u16 v1, v9 offset:156
	;; [unrolled: 1-line block ×11, first 2 shown]
	s_and_saveexec_b64 s[2:3], s[0:1]
	s_cbranch_execz .LBB0_20
; %bb.19:
	ds_read_u16 v34, v9 offset:312
	ds_read_u16 v35, v9 offset:676
	;; [unrolled: 1-line block ×3, first 2 shown]
.LBB0_20:
	s_or_b64 exec, exec, s[2:3]
	s_movk_i32 s2, 0x4f
	v_mul_lo_u16_sdwa v22, v11, s2 dst_sel:DWORD dst_unused:UNUSED_PAD src0_sel:BYTE_0 src1_sel:DWORD
	v_lshrrev_b16_e32 v43, 10, v22
	v_mul_lo_u16_sdwa v12, v4, s2 dst_sel:DWORD dst_unused:UNUSED_PAD src0_sel:BYTE_0 src1_sel:DWORD
	v_mul_lo_u16_e32 v22, 13, v43
	v_lshrrev_b16_e32 v32, 10, v12
	v_sub_u16_e32 v27, v11, v22
	v_add_u16_e32 v22, 0x4e, v4
	v_mul_lo_u16_e32 v12, 13, v32
	v_mul_lo_u16_sdwa v23, v22, s2 dst_sel:DWORD dst_unused:UNUSED_PAD src0_sel:BYTE_0 src1_sel:DWORD
	v_sub_u16_e32 v24, v4, v12
	v_mov_b32_e32 v21, 3
	v_lshrrev_b16_e32 v44, 10, v23
	v_lshlrev_b32_sdwa v12, v21, v24 dst_sel:DWORD dst_unused:UNUSED_PAD src0_sel:DWORD src1_sel:BYTE_0
	v_mul_lo_u16_e32 v23, 13, v44
	v_sub_u16_e32 v30, v22, v23
	global_load_dwordx2 v[22:23], v12, s[8:9]
	v_add_u16_e32 v12, 0x75, v4
	v_mul_lo_u16_sdwa v25, v12, s2 dst_sel:DWORD dst_unused:UNUSED_PAD src0_sel:BYTE_0 src1_sel:DWORD
	v_lshlrev_b32_sdwa v11, v21, v27 dst_sel:DWORD dst_unused:UNUSED_PAD src0_sel:DWORD src1_sel:BYTE_0
	v_lshrrev_b16_e32 v45, 10, v25
	global_load_dwordx2 v[25:26], v11, s[8:9]
	v_mul_lo_u16_e32 v11, 13, v45
	v_sub_u16_e32 v33, v12, v11
	v_lshlrev_b32_sdwa v31, v21, v30 dst_sel:DWORD dst_unused:UNUSED_PAD src0_sel:DWORD src1_sel:BYTE_0
	v_lshlrev_b32_sdwa v11, v21, v33 dst_sel:DWORD dst_unused:UNUSED_PAD src0_sel:DWORD src1_sel:BYTE_0
	v_add_u16_e32 v12, 0x9c, v4
	global_load_dwordx2 v[28:29], v31, s[8:9]
	global_load_dwordx2 v[39:40], v11, s[8:9]
	v_mul_lo_u16_sdwa v11, v12, s2 dst_sel:DWORD dst_unused:UNUSED_PAD src0_sel:BYTE_0 src1_sel:DWORD
	v_lshrrev_b16_e32 v11, 10, v11
	v_mul_lo_u16_e32 v31, 13, v11
	v_sub_u16_e32 v12, v12, v31
	v_lshlrev_b32_sdwa v21, v21, v12 dst_sel:DWORD dst_unused:UNUSED_PAD src0_sel:DWORD src1_sel:BYTE_0
	global_load_dwordx2 v[41:42], v21, s[8:9]
	v_mov_b32_e32 v21, 1
	v_lshlrev_b32_sdwa v48, v21, v24 dst_sel:DWORD dst_unused:UNUSED_PAD src0_sel:DWORD src1_sel:BYTE_0
	v_lshlrev_b32_sdwa v49, v21, v27 dst_sel:DWORD dst_unused:UNUSED_PAD src0_sel:DWORD src1_sel:BYTE_0
	v_lshlrev_b32_sdwa v50, v21, v30 dst_sel:DWORD dst_unused:UNUSED_PAD src0_sel:DWORD src1_sel:BYTE_0
	v_lshlrev_b32_sdwa v51, v21, v33 dst_sel:DWORD dst_unused:UNUSED_PAD src0_sel:DWORD src1_sel:BYTE_0
	s_movk_i32 s4, 0x3aee
	s_mov_b32 s5, 0xbaee
	s_movk_i32 s6, 0x4e
	s_waitcnt vmcnt(0) lgkmcnt(0)
	s_barrier
	v_mul_f16_sdwa v24, v19, v22 dst_sel:DWORD dst_unused:UNUSED_PAD src0_sel:DWORD src1_sel:WORD_1
	v_mul_f16_sdwa v31, v20, v23 dst_sel:DWORD dst_unused:UNUSED_PAD src0_sel:DWORD src1_sel:WORD_1
	;; [unrolled: 1-line block ×4, first 2 shown]
	v_fma_f16 v30, v70, v22, -v24
	v_mul_f16_sdwa v55, v18, v26 dst_sel:DWORD dst_unused:UNUSED_PAD src0_sel:DWORD src1_sel:WORD_1
	v_mul_f16_sdwa v56, v69, v26 dst_sel:DWORD dst_unused:UNUSED_PAD src0_sel:DWORD src1_sel:WORD_1
	v_fma_f16 v33, v71, v23, -v31
	v_mul_f16_sdwa v53, v15, v25 dst_sel:DWORD dst_unused:UNUSED_PAD src0_sel:DWORD src1_sel:WORD_1
	v_mul_f16_sdwa v54, v66, v25 dst_sel:DWORD dst_unused:UNUSED_PAD src0_sel:DWORD src1_sel:WORD_1
	;; [unrolled: 1-line block ×6, first 2 shown]
	v_fma_f16 v37, v19, v22, v27
	v_fma_f16 v38, v20, v23, v36
	v_fma_f16 v27, v69, v26, -v55
	v_fma_f16 v36, v18, v26, v56
	v_add_f16_e32 v26, v30, v33
	v_mul_f16_sdwa v73, v13, v39 dst_sel:DWORD dst_unused:UNUSED_PAD src0_sel:DWORD src1_sel:WORD_1
	v_mul_f16_sdwa v74, v64, v39 dst_sel:DWORD dst_unused:UNUSED_PAD src0_sel:DWORD src1_sel:WORD_1
	v_fma_f16 v24, v66, v25, -v53
	v_fma_f16 v31, v15, v25, v54
	v_fma_f16 v18, v65, v28, -v57
	v_fma_f16 v25, v14, v28, v58
	;; [unrolled: 2-line block ×3, first 2 shown]
	v_sub_f16_e32 v29, v37, v38
	v_fma_f16 v26, v26, -0.5, v63
	v_mul_f16_sdwa v75, v16, v40 dst_sel:DWORD dst_unused:UNUSED_PAD src0_sel:DWORD src1_sel:WORD_1
	v_mul_f16_sdwa v76, v67, v40 dst_sel:DWORD dst_unused:UNUSED_PAD src0_sel:DWORD src1_sel:WORD_1
	v_fma_f16 v14, v64, v39, -v73
	v_fma_f16 v20, v13, v39, v74
	v_fma_f16 v39, v29, s4, v26
	;; [unrolled: 1-line block ×3, first 2 shown]
	v_add_f16_e32 v26, v24, v27
	v_mul_f16_sdwa v77, v35, v41 dst_sel:DWORD dst_unused:UNUSED_PAD src0_sel:DWORD src1_sel:WORD_1
	v_mul_f16_sdwa v78, v52, v41 dst_sel:DWORD dst_unused:UNUSED_PAD src0_sel:DWORD src1_sel:WORD_1
	v_fma_f16 v17, v67, v40, -v75
	v_fma_f16 v23, v16, v40, v76
	v_fma_f16 v26, v26, -0.5, v62
	v_sub_f16_e32 v40, v31, v36
	v_mul_f16_sdwa v79, v0, v42 dst_sel:DWORD dst_unused:UNUSED_PAD src0_sel:DWORD src1_sel:WORD_1
	v_mul_f16_sdwa v80, v47, v42 dst_sel:DWORD dst_unused:UNUSED_PAD src0_sel:DWORD src1_sel:WORD_1
	v_fma_f16 v13, v52, v41, -v77
	v_fma_f16 v16, v35, v41, v78
	v_fma_f16 v41, v40, s4, v26
	;; [unrolled: 1-line block ×3, first 2 shown]
	v_add_f16_e32 v26, v60, v18
	v_fma_f16 v15, v47, v42, -v79
	v_fma_f16 v19, v0, v42, v80
	v_add_f16_e32 v42, v26, v22
	v_add_f16_e32 v26, v18, v22
	v_fma_f16 v26, v26, -0.5, v60
	v_sub_f16_e32 v47, v25, v28
	v_fma_f16 v52, v47, s4, v26
	v_fma_f16 v47, v47, s5, v26
	v_add_f16_e32 v26, v61, v14
	v_add_f16_e32 v53, v26, v17
	;; [unrolled: 1-line block ×3, first 2 shown]
	v_fma_f16 v26, v26, -0.5, v61
	v_sub_f16_e32 v54, v20, v23
	v_add_f16_e32 v0, v63, v30
	v_fma_f16 v55, v54, s4, v26
	v_fma_f16 v54, v54, s5, v26
	v_mad_u32_u24 v26, v32, s6, 0
	v_add_f16_e32 v0, v0, v33
	v_add3_u32 v26, v26, v48, v5
	ds_write_b16 v26, v0
	ds_write_b16 v26, v39 offset:26
	ds_write_b16 v26, v29 offset:52
	v_mad_u32_u24 v0, v43, s6, 0
	v_add_f16_e32 v35, v62, v24
	v_add3_u32 v29, v0, v49, v5
	v_mad_u32_u24 v0, v44, s6, 0
	v_add_f16_e32 v35, v35, v27
	v_add3_u32 v32, v0, v50, v5
	v_mad_u32_u24 v0, v45, s6, 0
	ds_write_b16 v29, v35
	ds_write_b16 v29, v41 offset:26
	ds_write_b16 v29, v40 offset:52
	v_add3_u32 v35, v0, v51, v5
	ds_write_b16 v32, v42
	ds_write_b16 v32, v52 offset:26
	ds_write_b16 v32, v47 offset:52
	ds_write_b16 v35, v53
	ds_write_b16 v35, v55 offset:26
	ds_write_b16 v35, v54 offset:52
	s_and_saveexec_b64 s[2:3], s[0:1]
	s_cbranch_execz .LBB0_22
; %bb.21:
	v_add_f16_e32 v0, v13, v15
	v_fma_f16 v0, v0, -0.5, v46
	v_sub_f16_e32 v39, v16, v19
	v_fma_f16 v40, v39, s5, v0
	v_fma_f16 v0, v39, s4, v0
	v_add_f16_e32 v39, v46, v13
	v_mad_u32_u24 v41, v11, s6, 0
	v_lshlrev_b32_sdwa v21, v21, v12 dst_sel:DWORD dst_unused:UNUSED_PAD src0_sel:DWORD src1_sel:BYTE_0
	v_add_f16_e32 v39, v39, v15
	v_add3_u32 v21, v41, v21, v5
	ds_write_b16 v21, v39
	ds_write_b16 v21, v0 offset:26
	ds_write_b16 v21, v40 offset:52
.LBB0_22:
	s_or_b64 exec, exec, s[2:3]
	v_add_f16_e32 v0, v10, v37
	v_add_f16_e32 v39, v0, v38
	v_add_f16_e32 v0, v37, v38
	v_fma_f16 v0, v0, -0.5, v10
	v_sub_f16_e32 v10, v30, v33
	v_fma_f16 v30, v10, s5, v0
	v_fma_f16 v33, v10, s4, v0
	v_add_f16_e32 v0, v3, v31
	v_add_f16_e32 v37, v0, v36
	v_add_f16_e32 v0, v31, v36
	v_fma_f16 v0, v0, -0.5, v3
	v_sub_f16_e32 v3, v24, v27
	v_fma_f16 v27, v3, s5, v0
	v_fma_f16 v31, v3, s4, v0
	;; [unrolled: 7-line block ×4, first 2 shown]
	s_waitcnt lgkmcnt(0)
	s_barrier
	ds_read_u16 v1, v8
	ds_read_u16 v10, v9 offset:624
	ds_read_u16 v2, v9 offset:546
	;; [unrolled: 1-line block ×13, first 2 shown]
	s_waitcnt lgkmcnt(0)
	s_barrier
	ds_write_b16 v26, v39
	ds_write_b16 v26, v30 offset:26
	ds_write_b16 v26, v33 offset:52
	ds_write_b16 v29, v37
	ds_write_b16 v29, v27 offset:26
	ds_write_b16 v29, v31 offset:52
	ds_write_b16 v32, v36
	ds_write_b16 v32, v28 offset:26
	ds_write_b16 v32, v38 offset:52
	ds_write_b16 v35, v40
	ds_write_b16 v35, v41 offset:26
	ds_write_b16 v35, v42 offset:52
	s_and_saveexec_b64 s[2:3], s[0:1]
	s_cbranch_execz .LBB0_24
; %bb.23:
	v_add_f16_e32 v26, v34, v16
	v_add_f16_e32 v16, v16, v19
	v_fma_f16 v16, v16, -0.5, v34
	v_sub_f16_e32 v13, v13, v15
	s_mov_b32 s0, 0xbaee
	v_fma_f16 v15, v13, s0, v16
	s_movk_i32 s0, 0x3aee
	v_fma_f16 v13, v13, s0, v16
	s_movk_i32 s0, 0x4e
	v_mov_b32_e32 v16, 1
	v_mad_u32_u24 v11, v11, s0, 0
	v_lshlrev_b32_sdwa v12, v16, v12 dst_sel:DWORD dst_unused:UNUSED_PAD src0_sel:DWORD src1_sel:BYTE_0
	v_add_f16_e32 v26, v26, v19
	v_add3_u32 v5, v11, v12, v5
	ds_write_b16 v5, v26
	ds_write_b16 v5, v15 offset:26
	ds_write_b16 v5, v13 offset:52
.LBB0_24:
	s_or_b64 exec, exec, s[2:3]
	v_mul_u32_u24_e32 v5, 6, v4
	v_lshlrev_b32_e32 v5, 2, v5
	s_waitcnt lgkmcnt(0)
	s_barrier
	global_load_dwordx4 v[26:29], v5, s[8:9] offset:104
	global_load_dwordx2 v[11:12], v5, s[8:9] offset:120
	ds_read_u16 v5, v8
	ds_read_u16 v13, v9 offset:624
	ds_read_u16 v15, v9 offset:546
	ds_read_u16 v16, v9 offset:468
	ds_read_u16 v19, v9 offset:390
	ds_read_u16 v30, v9 offset:312
	ds_read_u16 v31, v9 offset:234
	ds_read_u16 v32, v9 offset:156
	ds_read_u16 v33, v9 offset:78
	ds_read_u16 v34, v9 offset:1014
	ds_read_u16 v35, v9 offset:936
	ds_read_u16 v36, v9 offset:858
	ds_read_u16 v37, v9 offset:780
	ds_read_u16 v38, v9 offset:702
	s_movk_i32 s0, 0x2b26
	s_mov_b32 s2, 0xbcab
	s_movk_i32 s3, 0x39e0
	s_mov_b32 s4, 0xb9e0
	s_movk_i32 s5, 0x3574
	s_mov_b32 s6, 0xb574
	s_movk_i32 s1, 0x3b00
	s_movk_i32 s7, 0x370e
	s_waitcnt vmcnt(0) lgkmcnt(0)
	s_barrier
	v_mul_f16_sdwa v39, v32, v26 dst_sel:DWORD dst_unused:UNUSED_PAD src0_sel:DWORD src1_sel:WORD_1
	v_mul_f16_sdwa v40, v25, v26 dst_sel:DWORD dst_unused:UNUSED_PAD src0_sel:DWORD src1_sel:WORD_1
	;; [unrolled: 1-line block ×20, first 2 shown]
	v_fma_f16 v25, v25, v26, -v39
	v_fma_f16 v32, v32, v26, v40
	v_fma_f16 v23, v23, v27, -v41
	v_fma_f16 v30, v30, v27, v42
	;; [unrolled: 2-line block ×4, first 2 shown]
	v_mul_f16_sdwa v61, v34, v12 dst_sel:DWORD dst_unused:UNUSED_PAD src0_sel:DWORD src1_sel:WORD_1
	v_mul_f16_sdwa v62, v3, v12 dst_sel:DWORD dst_unused:UNUSED_PAD src0_sel:DWORD src1_sel:WORD_1
	v_fma_f16 v21, v21, v28, -v43
	v_fma_f16 v16, v16, v28, v44
	v_fma_f16 v10, v10, v29, -v45
	v_fma_f16 v13, v13, v29, v46
	;; [unrolled: 2-line block ×6, first 2 shown]
	v_add_f16_e32 v28, v25, v22
	v_add_f16_e32 v29, v32, v35
	v_sub_f16_e32 v22, v25, v22
	v_sub_f16_e32 v25, v32, v35
	v_add_f16_e32 v31, v23, v24
	v_add_f16_e32 v32, v30, v37
	v_mul_f16_sdwa v59, v36, v11 dst_sel:DWORD dst_unused:UNUSED_PAD src0_sel:DWORD src1_sel:WORD_1
	v_mul_f16_sdwa v60, v17, v11 dst_sel:DWORD dst_unused:UNUSED_PAD src0_sel:DWORD src1_sel:WORD_1
	v_fma_f16 v3, v3, v12, -v61
	v_fma_f16 v12, v34, v12, v62
	v_sub_f16_e32 v23, v23, v24
	v_sub_f16_e32 v24, v30, v37
	v_add_f16_e32 v30, v21, v10
	v_add_f16_e32 v34, v16, v13
	v_sub_f16_e32 v10, v10, v21
	v_sub_f16_e32 v13, v13, v16
	v_add_f16_e32 v16, v31, v28
	v_add_f16_e32 v21, v32, v29
	v_fma_f16 v17, v17, v11, -v59
	v_fma_f16 v11, v36, v11, v60
	v_sub_f16_e32 v35, v31, v28
	v_sub_f16_e32 v36, v32, v29
	;; [unrolled: 1-line block ×6, first 2 shown]
	v_add_f16_e32 v37, v10, v23
	v_add_f16_e32 v38, v13, v24
	v_sub_f16_e32 v39, v10, v23
	v_sub_f16_e32 v40, v13, v24
	;; [unrolled: 1-line block ×4, first 2 shown]
	v_add_f16_e32 v16, v30, v16
	v_add_f16_e32 v21, v34, v21
	v_sub_f16_e32 v10, v22, v10
	v_sub_f16_e32 v13, v25, v13
	v_add_f16_e32 v22, v37, v22
	v_add_f16_e32 v25, v38, v25
	;; [unrolled: 1-line block ×4, first 2 shown]
	v_mul_f16_e32 v28, 0x3a52, v28
	v_mul_f16_e32 v29, 0x3a52, v29
	;; [unrolled: 1-line block ×8, first 2 shown]
	v_fma_f16 v16, v16, s2, v1
	v_fma_f16 v21, v21, s2, v5
	;; [unrolled: 1-line block ×4, first 2 shown]
	v_fma_f16 v30, v35, s3, -v30
	v_fma_f16 v34, v36, s3, -v34
	v_fma_f16 v28, v35, s4, -v28
	v_fma_f16 v29, v36, s4, -v29
	v_fma_f16 v35, v10, s5, v37
	v_fma_f16 v36, v13, s5, v38
	v_fma_f16 v10, v10, s6, -v39
	v_fma_f16 v13, v13, s6, -v40
	;; [unrolled: 1-line block ×3, first 2 shown]
	v_add_f16_e32 v31, v31, v16
	v_add_f16_e32 v32, v32, v21
	;; [unrolled: 1-line block ×6, first 2 shown]
	v_fma_f16 v29, v25, s7, v36
	v_fma_f16 v10, v22, s7, v10
	;; [unrolled: 1-line block ×3, first 2 shown]
	v_fma_f16 v24, v24, s1, -v38
	v_fma_f16 v28, v22, s7, v35
	v_fma_f16 v23, v22, s7, v23
	v_add_f16_e32 v22, v29, v31
	v_add_f16_e32 v35, v13, v16
	v_sub_f16_e32 v36, v21, v10
	v_sub_f16_e32 v13, v16, v13
	v_add_f16_e32 v21, v10, v21
	v_sub_f16_e32 v10, v31, v29
	v_add_f16_e32 v16, v18, v3
	v_add_f16_e32 v29, v26, v12
	v_sub_f16_e32 v3, v18, v3
	v_sub_f16_e32 v12, v26, v12
	v_add_f16_e32 v18, v14, v17
	v_add_f16_e32 v26, v19, v11
	v_fma_f16 v24, v25, s7, v24
	v_sub_f16_e32 v14, v14, v17
	v_sub_f16_e32 v11, v19, v11
	v_add_f16_e32 v17, v2, v20
	v_add_f16_e32 v19, v15, v27
	v_sub_f16_e32 v2, v20, v2
	v_sub_f16_e32 v15, v27, v15
	v_add_f16_e32 v20, v18, v16
	v_add_f16_e32 v27, v26, v29
	;; [unrolled: 4-line block ×3, first 2 shown]
	v_sub_f16_e32 v23, v34, v23
	v_add_f16_e32 v28, v28, v32
	v_sub_f16_e32 v30, v18, v16
	v_sub_f16_e32 v31, v26, v29
	;; [unrolled: 1-line block ×6, first 2 shown]
	v_add_f16_e32 v32, v2, v14
	v_add_f16_e32 v34, v15, v11
	v_sub_f16_e32 v39, v2, v14
	v_sub_f16_e32 v40, v15, v11
	;; [unrolled: 1-line block ×4, first 2 shown]
	v_add_f16_e32 v17, v17, v20
	v_add_f16_e32 v19, v19, v27
	v_sub_f16_e32 v2, v3, v2
	v_sub_f16_e32 v15, v12, v15
	v_add_f16_e32 v3, v32, v3
	v_add_f16_e32 v12, v34, v12
	;; [unrolled: 1-line block ×4, first 2 shown]
	v_mul_f16_e32 v16, 0x3a52, v16
	v_mul_f16_e32 v27, 0x3a52, v29
	;; [unrolled: 1-line block ×8, first 2 shown]
	v_fma_f16 v17, v17, s2, v0
	v_fma_f16 v19, v19, s2, v20
	;; [unrolled: 1-line block ×4, first 2 shown]
	v_fma_f16 v29, v30, s3, -v29
	v_fma_f16 v32, v31, s3, -v32
	;; [unrolled: 1-line block ×4, first 2 shown]
	v_fma_f16 v30, v2, s5, v33
	v_fma_f16 v31, v15, s5, v34
	v_fma_f16 v14, v14, s1, -v33
	v_fma_f16 v11, v11, s1, -v34
	;; [unrolled: 1-line block ×4, first 2 shown]
	v_add_f16_e32 v18, v18, v17
	v_add_f16_e32 v26, v26, v19
	;; [unrolled: 1-line block ×6, first 2 shown]
	v_fma_f16 v19, v3, s7, v30
	v_fma_f16 v27, v12, s7, v31
	;; [unrolled: 1-line block ×6, first 2 shown]
	v_add_f16_e32 v12, v27, v18
	v_add_f16_e32 v15, v3, v16
	v_sub_f16_e32 v31, v17, v2
	v_sub_f16_e32 v33, v29, v11
	v_add_f16_e32 v34, v14, v32
	v_add_f16_e32 v11, v11, v29
	v_sub_f16_e32 v29, v32, v14
	v_sub_f16_e32 v3, v16, v3
	v_add_f16_e32 v32, v2, v17
	v_sub_f16_e32 v2, v18, v27
	v_sub_f16_e32 v30, v26, v19
	v_add_f16_e32 v26, v19, v26
	ds_write_b16 v9, v1
	ds_write_b16 v9, v22 offset:78
	ds_write_b16 v9, v35 offset:156
	;; [unrolled: 1-line block ×13, first 2 shown]
	s_waitcnt lgkmcnt(0)
	s_barrier
	ds_read_u16 v0, v8
	ds_read_u16 v1, v9 offset:78
	ds_read_u16 v2, v9 offset:156
	;; [unrolled: 1-line block ×13, first 2 shown]
	s_waitcnt lgkmcnt(0)
	s_barrier
	ds_write_b16 v9, v5
	ds_write_b16 v9, v25 offset:78
	ds_write_b16 v9, v36 offset:156
	;; [unrolled: 1-line block ×13, first 2 shown]
	s_waitcnt lgkmcnt(0)
	s_barrier
	s_and_saveexec_b64 s[0:1], vcc
	s_cbranch_execz .LBB0_26
; %bb.25:
	v_mov_b32_e32 v5, 0
	v_lshlrev_b64 v[20:21], 2, v[4:5]
	v_mov_b32_e32 v23, s9
	v_add_co_u32_e32 v22, vcc, s8, v20
	v_addc_co_u32_e32 v23, vcc, v23, v21, vcc
	global_load_dword v24, v[22:23], off offset:1976
	global_load_dword v25, v[22:23], off offset:1820
	global_load_dword v26, v[22:23], off offset:1664
	global_load_dword v27, v[22:23], off offset:1508
	global_load_dword v28, v[22:23], off offset:1352
	global_load_dword v29, v[22:23], off offset:1196
	global_load_dword v30, v[22:23], off offset:1040
	ds_read_u16 v22, v9 offset:1014
	ds_read_u16 v23, v9 offset:936
	;; [unrolled: 1-line block ×13, first 2 shown]
	ds_read_u16 v8, v8
	v_mov_b32_e32 v41, s13
	s_mov_b32 s0, 0xe01e01e1
	s_waitcnt vmcnt(6) lgkmcnt(13)
	v_mul_f16_sdwa v42, v22, v24 dst_sel:DWORD dst_unused:UNUSED_PAD src0_sel:DWORD src1_sel:WORD_1
	v_mul_f16_sdwa v43, v19, v24 dst_sel:DWORD dst_unused:UNUSED_PAD src0_sel:DWORD src1_sel:WORD_1
	s_waitcnt vmcnt(4) lgkmcnt(11)
	v_mul_f16_sdwa v46, v31, v26 dst_sel:DWORD dst_unused:UNUSED_PAD src0_sel:DWORD src1_sel:WORD_1
	v_mul_f16_sdwa v47, v17, v26 dst_sel:DWORD dst_unused:UNUSED_PAD src0_sel:DWORD src1_sel:WORD_1
	s_waitcnt vmcnt(2) lgkmcnt(9)
	v_mul_f16_sdwa v50, v33, v28 dst_sel:DWORD dst_unused:UNUSED_PAD src0_sel:DWORD src1_sel:WORD_1
	s_waitcnt vmcnt(1) lgkmcnt(8)
	;; [unrolled: 2-line block ×3, first 2 shown]
	v_mul_f16_sdwa v54, v35, v30 dst_sel:DWORD dst_unused:UNUSED_PAD src0_sel:DWORD src1_sel:WORD_1
	v_mul_f16_sdwa v55, v13, v30 dst_sel:DWORD dst_unused:UNUSED_PAD src0_sel:DWORD src1_sel:WORD_1
	v_fma_f16 v13, v13, v30, -v54
	v_mul_f16_sdwa v51, v15, v28 dst_sel:DWORD dst_unused:UNUSED_PAD src0_sel:DWORD src1_sel:WORD_1
	v_mul_f16_sdwa v53, v14, v29 dst_sel:DWORD dst_unused:UNUSED_PAD src0_sel:DWORD src1_sel:WORD_1
	v_fma_f16 v14, v14, v29, -v52
	v_sub_f16_e32 v13, v0, v13
	v_mul_f16_sdwa v44, v23, v25 dst_sel:DWORD dst_unused:UNUSED_PAD src0_sel:DWORD src1_sel:WORD_1
	v_mul_f16_sdwa v45, v18, v25 dst_sel:DWORD dst_unused:UNUSED_PAD src0_sel:DWORD src1_sel:WORD_1
	;; [unrolled: 1-line block ×4, first 2 shown]
	v_fma_f16 v19, v19, v24, -v42
	v_fma_f16 v22, v24, v22, v43
	v_fma_f16 v17, v17, v26, -v46
	v_fma_f16 v24, v26, v31, v47
	;; [unrolled: 2-line block ×3, first 2 shown]
	v_fma_f16 v28, v30, v35, v55
	v_sub_f16_e32 v14, v1, v14
	v_fma_f16 v35, v0, 2.0, -v13
	v_add_co_u32_e32 v0, vcc, s12, v6
	v_fma_f16 v18, v18, v25, -v44
	v_fma_f16 v23, v25, v23, v45
	v_fma_f16 v16, v16, v27, -v48
	v_fma_f16 v25, v27, v32, v49
	v_fma_f16 v27, v29, v34, v53
	s_waitcnt lgkmcnt(0)
	v_sub_f16_e32 v28, v8, v28
	v_fma_f16 v34, v1, 2.0, -v14
	v_addc_co_u32_e32 v1, vcc, v41, v7, vcc
	v_sub_f16_e32 v15, v2, v15
	v_sub_f16_e32 v26, v40, v26
	v_fma_f16 v8, v8, 2.0, -v28
	v_add_co_u32_e32 v0, vcc, v0, v20
	v_sub_f16_e32 v27, v9, v27
	v_fma_f16 v2, v2, 2.0, -v15
	v_fma_f16 v33, v40, 2.0, -v26
	v_addc_co_u32_e32 v1, vcc, v1, v21, vcc
	v_pack_b32_f16 v6, v35, v8
	v_sub_f16_e32 v16, v3, v16
	v_sub_f16_e32 v25, v39, v25
	v_fma_f16 v9, v9, 2.0, -v27
	global_store_dword v[0:1], v6, off
	v_pack_b32_f16 v6, v13, v28
	v_pack_b32_f16 v2, v2, v33
	v_fma_f16 v3, v3, 2.0, -v16
	v_fma_f16 v32, v39, 2.0, -v25
	global_store_dword v[0:1], v6, off offset:1092
	v_pack_b32_f16 v6, v34, v9
	global_store_dword v[0:1], v2, off offset:312
	v_pack_b32_f16 v2, v15, v26
	;; [unrolled: 2-line block ×4, first 2 shown]
	v_add_u32_e32 v3, 0xc3, v4
	v_sub_f16_e32 v17, v10, v17
	v_sub_f16_e32 v24, v38, v24
	global_store_dword v[0:1], v6, off offset:1248
	v_mul_hi_u32 v6, v3, s0
	v_fma_f16 v10, v10, 2.0, -v17
	v_fma_f16 v31, v38, 2.0, -v24
	global_store_dword v[0:1], v2, off offset:468
	v_pack_b32_f16 v2, v16, v25
	global_store_dword v[0:1], v2, off offset:1560
	v_pack_b32_f16 v2, v10, v31
	;; [unrolled: 2-line block ×3, first 2 shown]
	global_store_dword v[0:1], v2, off offset:1716
	v_sub_u32_e32 v2, v3, v6
	v_lshrrev_b32_e32 v2, 1, v2
	v_add_u32_e32 v2, v2, v6
	v_lshrrev_b32_e32 v2, 8, v2
	v_mul_u32_u24_e32 v2, 0x111, v2
	v_mov_b32_e32 v3, v5
	v_lshlrev_b64 v[2:3], 2, v[2:3]
	v_add_u32_e32 v4, 0xea, v4
	v_sub_f16_e32 v18, v11, v18
	v_sub_f16_e32 v23, v37, v23
	v_mul_hi_u32 v7, v4, s0
	v_fma_f16 v11, v11, 2.0, -v18
	v_fma_f16 v30, v37, 2.0, -v23
	v_add_co_u32_e32 v2, vcc, v0, v2
	v_addc_co_u32_e32 v3, vcc, v1, v3, vcc
	v_pack_b32_f16 v6, v11, v30
	global_store_dword v[2:3], v6, off offset:780
	v_pack_b32_f16 v6, v18, v23
	global_store_dword v[2:3], v6, off offset:1872
	v_sub_u32_e32 v2, v4, v7
	v_lshrrev_b32_e32 v2, 1, v2
	v_add_u32_e32 v2, v2, v7
	v_lshrrev_b32_e32 v2, 8, v2
	v_mul_u32_u24_e32 v4, 0x111, v2
	v_lshlrev_b64 v[2:3], 2, v[4:5]
	v_sub_f16_e32 v19, v12, v19
	v_sub_f16_e32 v22, v36, v22
	v_fma_f16 v12, v12, 2.0, -v19
	v_fma_f16 v29, v36, 2.0, -v22
	v_add_co_u32_e32 v0, vcc, v0, v2
	v_addc_co_u32_e32 v1, vcc, v1, v3, vcc
	v_pack_b32_f16 v2, v12, v29
	global_store_dword v[0:1], v2, off offset:936
	v_pack_b32_f16 v2, v19, v22
	global_store_dword v[0:1], v2, off offset:2028
.LBB0_26:
	s_endpgm
	.section	.rodata,"a",@progbits
	.p2align	6, 0x0
	.amdhsa_kernel fft_rtc_fwd_len546_factors_13_3_7_2_wgs_117_tpt_39_halfLds_half_ip_CI_unitstride_sbrr_dirReg
		.amdhsa_group_segment_fixed_size 0
		.amdhsa_private_segment_fixed_size 0
		.amdhsa_kernarg_size 88
		.amdhsa_user_sgpr_count 6
		.amdhsa_user_sgpr_private_segment_buffer 1
		.amdhsa_user_sgpr_dispatch_ptr 0
		.amdhsa_user_sgpr_queue_ptr 0
		.amdhsa_user_sgpr_kernarg_segment_ptr 1
		.amdhsa_user_sgpr_dispatch_id 0
		.amdhsa_user_sgpr_flat_scratch_init 0
		.amdhsa_user_sgpr_private_segment_size 0
		.amdhsa_uses_dynamic_stack 0
		.amdhsa_system_sgpr_private_segment_wavefront_offset 0
		.amdhsa_system_sgpr_workgroup_id_x 1
		.amdhsa_system_sgpr_workgroup_id_y 0
		.amdhsa_system_sgpr_workgroup_id_z 0
		.amdhsa_system_sgpr_workgroup_info 0
		.amdhsa_system_vgpr_workitem_id 0
		.amdhsa_next_free_vgpr 123
		.amdhsa_next_free_sgpr 45
		.amdhsa_reserve_vcc 1
		.amdhsa_reserve_flat_scratch 0
		.amdhsa_float_round_mode_32 0
		.amdhsa_float_round_mode_16_64 0
		.amdhsa_float_denorm_mode_32 3
		.amdhsa_float_denorm_mode_16_64 3
		.amdhsa_dx10_clamp 1
		.amdhsa_ieee_mode 1
		.amdhsa_fp16_overflow 0
		.amdhsa_exception_fp_ieee_invalid_op 0
		.amdhsa_exception_fp_denorm_src 0
		.amdhsa_exception_fp_ieee_div_zero 0
		.amdhsa_exception_fp_ieee_overflow 0
		.amdhsa_exception_fp_ieee_underflow 0
		.amdhsa_exception_fp_ieee_inexact 0
		.amdhsa_exception_int_div_zero 0
	.end_amdhsa_kernel
	.text
.Lfunc_end0:
	.size	fft_rtc_fwd_len546_factors_13_3_7_2_wgs_117_tpt_39_halfLds_half_ip_CI_unitstride_sbrr_dirReg, .Lfunc_end0-fft_rtc_fwd_len546_factors_13_3_7_2_wgs_117_tpt_39_halfLds_half_ip_CI_unitstride_sbrr_dirReg
                                        ; -- End function
	.section	.AMDGPU.csdata,"",@progbits
; Kernel info:
; codeLenInByte = 11312
; NumSgprs: 49
; NumVgprs: 123
; ScratchSize: 0
; MemoryBound: 0
; FloatMode: 240
; IeeeMode: 1
; LDSByteSize: 0 bytes/workgroup (compile time only)
; SGPRBlocks: 6
; VGPRBlocks: 30
; NumSGPRsForWavesPerEU: 49
; NumVGPRsForWavesPerEU: 123
; Occupancy: 2
; WaveLimiterHint : 1
; COMPUTE_PGM_RSRC2:SCRATCH_EN: 0
; COMPUTE_PGM_RSRC2:USER_SGPR: 6
; COMPUTE_PGM_RSRC2:TRAP_HANDLER: 0
; COMPUTE_PGM_RSRC2:TGID_X_EN: 1
; COMPUTE_PGM_RSRC2:TGID_Y_EN: 0
; COMPUTE_PGM_RSRC2:TGID_Z_EN: 0
; COMPUTE_PGM_RSRC2:TIDIG_COMP_CNT: 0
	.type	__hip_cuid_b03ff6e3ff29679a,@object ; @__hip_cuid_b03ff6e3ff29679a
	.section	.bss,"aw",@nobits
	.globl	__hip_cuid_b03ff6e3ff29679a
__hip_cuid_b03ff6e3ff29679a:
	.byte	0                               ; 0x0
	.size	__hip_cuid_b03ff6e3ff29679a, 1

	.ident	"AMD clang version 19.0.0git (https://github.com/RadeonOpenCompute/llvm-project roc-6.4.0 25133 c7fe45cf4b819c5991fe208aaa96edf142730f1d)"
	.section	".note.GNU-stack","",@progbits
	.addrsig
	.addrsig_sym __hip_cuid_b03ff6e3ff29679a
	.amdgpu_metadata
---
amdhsa.kernels:
  - .args:
      - .actual_access:  read_only
        .address_space:  global
        .offset:         0
        .size:           8
        .value_kind:     global_buffer
      - .offset:         8
        .size:           8
        .value_kind:     by_value
      - .actual_access:  read_only
        .address_space:  global
        .offset:         16
        .size:           8
        .value_kind:     global_buffer
      - .actual_access:  read_only
        .address_space:  global
        .offset:         24
        .size:           8
        .value_kind:     global_buffer
      - .offset:         32
        .size:           8
        .value_kind:     by_value
      - .actual_access:  read_only
        .address_space:  global
        .offset:         40
        .size:           8
        .value_kind:     global_buffer
      - .actual_access:  read_only
        .address_space:  global
        .offset:         48
        .size:           8
        .value_kind:     global_buffer
      - .offset:         56
        .size:           4
        .value_kind:     by_value
      - .actual_access:  read_only
        .address_space:  global
        .offset:         64
        .size:           8
        .value_kind:     global_buffer
      - .actual_access:  read_only
        .address_space:  global
        .offset:         72
        .size:           8
        .value_kind:     global_buffer
      - .address_space:  global
        .offset:         80
        .size:           8
        .value_kind:     global_buffer
    .group_segment_fixed_size: 0
    .kernarg_segment_align: 8
    .kernarg_segment_size: 88
    .language:       OpenCL C
    .language_version:
      - 2
      - 0
    .max_flat_workgroup_size: 117
    .name:           fft_rtc_fwd_len546_factors_13_3_7_2_wgs_117_tpt_39_halfLds_half_ip_CI_unitstride_sbrr_dirReg
    .private_segment_fixed_size: 0
    .sgpr_count:     49
    .sgpr_spill_count: 0
    .symbol:         fft_rtc_fwd_len546_factors_13_3_7_2_wgs_117_tpt_39_halfLds_half_ip_CI_unitstride_sbrr_dirReg.kd
    .uniform_work_group_size: 1
    .uses_dynamic_stack: false
    .vgpr_count:     123
    .vgpr_spill_count: 0
    .wavefront_size: 64
amdhsa.target:   amdgcn-amd-amdhsa--gfx906
amdhsa.version:
  - 1
  - 2
...

	.end_amdgpu_metadata
